;; amdgpu-corpus repo=UoB-HPC/miniBUDE kind=compiled arch=gfx950 opt=O3
	.amdgcn_target "amdgcn-amd-amdhsa--gfx950"
	.amdhsa_code_object_version 6
	.section	.text._ZL11fasten_mainILm1EEviiPK4AtomS2_PKfS4_S4_S4_S4_S4_PfPK8FFParamsi,"axG",@progbits,_ZL11fasten_mainILm1EEviiPK4AtomS2_PKfS4_S4_S4_S4_S4_PfPK8FFParamsi,comdat
	.globl	_ZL11fasten_mainILm1EEviiPK4AtomS2_PKfS4_S4_S4_S4_S4_PfPK8FFParamsi ; -- Begin function _ZL11fasten_mainILm1EEviiPK4AtomS2_PKfS4_S4_S4_S4_S4_PfPK8FFParamsi
	.p2align	8
	.type	_ZL11fasten_mainILm1EEviiPK4AtomS2_PKfS4_S4_S4_S4_S4_PfPK8FFParamsi,@function
_ZL11fasten_mainILm1EEviiPK4AtomS2_PKfS4_S4_S4_S4_S4_PfPK8FFParamsi: ; @_ZL11fasten_mainILm1EEviiPK4AtomS2_PKfS4_S4_S4_S4_S4_PfPK8FFParamsi
; %bb.0:
	s_load_dword s3, s[0:1], 0x6c
	s_load_dword s4, s[0:1], 0x58
	s_load_dwordx16 s[36:51], s[0:1], 0x8
	v_not_b32_e32 v10, 63
	s_mov_b32 s9, 0xfe5163ab
	s_waitcnt lgkmcnt(0)
	s_and_b32 s3, s3, 0xffff
	s_mul_i32 s2, s2, s3
	v_add_u32_e32 v4, s2, v0
	s_add_i32 s2, s4, -1
	v_mov_b32_e32 v0, s2
	v_cmp_gt_i32_e64 s[10:11], s4, v4
	s_load_dwordx4 s[20:23], s[0:1], 0x48
	s_load_dwordx2 s[6:7], s[0:1], 0x0
	v_cndmask_b32_e64 v0, v0, v4, s[10:11]
	v_ashrrev_i32_e32 v1, 31, v0
	v_lshlrev_b64 v[0:1], 2, v[0:1]
	v_lshl_add_u64 v[2:3], s[40:41], 0, v[0:1]
	global_load_dword v2, v[2:3], off
	v_lshl_add_u64 v[12:13], s[42:43], 0, v[0:1]
	global_load_dword v3, v[12:13], off
	v_not_b32_e32 v9, 31
	v_mov_b32_e32 v7, 0
	s_mov_b32 s12, 0x3c439041
	s_mov_b32 s13, 0xdb629599
	;; [unrolled: 1-line block ×9, first 2 shown]
	s_brev_b32 s8, 18
	s_waitcnt lgkmcnt(0)
	s_max_i32 s30, s7, 1
	s_max_i32 s31, s6, 1
	s_mov_b32 s25, 0
	s_add_u32 s26, s36, 8
	s_addc_u32 s27, s37, 0
	s_movk_i32 s33, 0x46
	s_movk_i32 s34, 0x45
	s_mov_b32 s35, 0xf800000
	s_waitcnt vmcnt(1)
	v_and_b32_e32 v8, 0x7fffffff, v2
	v_lshrrev_b32_e32 v6, 23, v8
	v_add_u32_e32 v6, 0xffffff88, v6
	v_and_b32_e32 v11, 0x7fffff, v8
	v_cmp_lt_u32_e32 vcc, 63, v6
	v_or_b32_e32 v11, 0x800000, v11
	v_mad_u64_u32 v[12:13], s[0:1], v11, s9, 0
	v_cndmask_b32_e32 v14, 0, v10, vcc
	v_add_u32_e32 v16, v14, v6
	v_mov_b32_e32 v6, v13
	v_cmp_lt_u32_e64 s[0:1], 31, v16
	v_mad_u64_u32 v[14:15], s[2:3], v11, s12, v[6:7]
	s_nop 0
	v_cndmask_b32_e64 v13, 0, v9, s[0:1]
	v_add_u32_e32 v13, v13, v16
	v_mov_b32_e32 v6, v15
	v_cmp_lt_u32_e64 s[2:3], 31, v13
	v_mad_u64_u32 v[16:17], s[4:5], v11, s13, v[6:7]
	s_nop 0
	v_cndmask_b32_e64 v15, 0, v9, s[2:3]
	v_mov_b32_e32 v6, v17
	v_add_u32_e32 v18, v15, v13
	v_cndmask_b32_e32 v17, v16, v12, vcc
	v_mad_u64_u32 v[12:13], s[4:5], v11, s14, v[6:7]
	v_mov_b32_e32 v6, v13
	v_cndmask_b32_e32 v13, v12, v14, vcc
	v_mad_u64_u32 v[14:15], s[4:5], v11, s15, v[6:7]
	v_mov_b32_e32 v6, v15
	v_cndmask_b32_e64 v20, v13, v17, s[0:1]
	v_cndmask_b32_e32 v15, v14, v16, vcc
	v_mad_u64_u32 v[16:17], s[4:5], v11, s16, v[6:7]
	v_mov_b32_e32 v6, v17
	v_cndmask_b32_e64 v21, v15, v13, s[0:1]
	v_cndmask_b32_e32 v22, v16, v12, vcc
	v_mad_u64_u32 v[12:13], s[4:5], v11, s18, v[6:7]
	v_cndmask_b32_e32 v11, v12, v14, vcc
	v_cndmask_b32_e32 v12, v13, v16, vcc
	v_cndmask_b32_e64 v6, v22, v15, s[0:1]
	v_cndmask_b32_e64 v14, v11, v22, s[0:1]
	;; [unrolled: 1-line block ×3, first 2 shown]
	v_sub_u32_e32 v19, 32, v18
	v_cndmask_b32_e64 v13, v6, v21, s[2:3]
	v_cndmask_b32_e64 v11, v11, v14, s[2:3]
	;; [unrolled: 1-line block ×3, first 2 shown]
	v_alignbit_b32 v14, v11, v6, v19
	v_cmp_eq_u32_e32 vcc, 0, v18
	v_cndmask_b32_e64 v17, v21, v20, s[2:3]
	v_alignbit_b32 v15, v6, v13, v19
	v_cndmask_b32_e32 v11, v14, v11, vcc
	v_alignbit_b32 v12, v13, v17, v19
	v_cndmask_b32_e32 v6, v15, v6, vcc
	v_bfe_u32 v15, v11, 29, 1
	v_cndmask_b32_e32 v12, v12, v13, vcc
	v_alignbit_b32 v13, v11, v6, 30
	v_sub_u32_e32 v16, 0, v15
	v_alignbit_b32 v6, v6, v12, 30
	v_alignbit_b32 v12, v12, v17, 30
	v_xor_b32_e32 v13, v13, v16
	v_xor_b32_e32 v6, v6, v16
	;; [unrolled: 1-line block ×3, first 2 shown]
	v_ffbh_u32_e32 v16, v13
	v_lshrrev_b32_e32 v14, 29, v11
	v_min_u32_e32 v16, 32, v16
	v_lshrrev_b32_e32 v11, 30, v11
	v_lshlrev_b32_e32 v14, 31, v14
	v_sub_u32_e32 v17, 31, v16
	v_add_u32_e32 v11, v15, v11
	v_or_b32_e32 v15, 0x33000000, v14
	v_or_b32_e32 v14, 0.5, v14
	v_lshlrev_b32_e32 v18, 23, v16
	v_alignbit_b32 v13, v13, v6, v17
	v_alignbit_b32 v6, v6, v12, v17
	v_sub_u32_e32 v12, v14, v18
	v_alignbit_b32 v14, v13, v6, 9
	v_lshrrev_b32_e32 v13, 9, v13
	v_ffbh_u32_e32 v17, v14
	v_mul_f32_e64 v5, |v2|, s19
	v_or_b32_e32 v12, v13, v12
	v_min_u32_e32 v13, 32, v17
	v_not_b32_e32 v18, v13
	v_rndne_f32_e32 v5, v5
	v_mul_f32_e32 v17, 0x3fc90fda, v12
	v_add_lshl_u32 v13, v13, v16, 23
	v_alignbit_b32 v6, v14, v6, v18
	v_fma_f32 v14, v5, s24, |v2|
	v_fma_f32 v16, v12, s17, -v17
	v_sub_u32_e32 v13, v15, v13
	v_lshrrev_b32_e32 v6, 9, v6
	v_fmac_f32_e32 v14, 0xb3a22168, v5
	v_fmac_f32_e32 v16, 0x33a22168, v12
	v_or_b32_e32 v6, v13, v6
	v_fmac_f32_e32 v14, 0xa7c234c4, v5
	v_cvt_i32_f32_e32 v15, v5
	s_waitcnt vmcnt(0)
	v_and_b32_e32 v5, 0x7fffffff, v3
	v_fmac_f32_e32 v16, 0x3fc90fda, v6
	v_lshrrev_b32_e32 v6, 23, v5
	v_add_u32_e32 v6, 0xffffff88, v6
	v_cmp_lt_u32_e32 vcc, 63, v6
	v_lshl_add_u64 v[20:21], s[44:45], 0, v[0:1]
	v_add_f32_e32 v13, v17, v16
	v_cndmask_b32_e32 v12, 0, v10, vcc
	v_add_u32_e32 v6, v12, v6
	v_cmp_lt_u32_e64 s[0:1], 31, v6
	s_nop 1
	v_cndmask_b32_e64 v12, 0, v9, s[0:1]
	v_add_u32_e32 v6, v12, v6
	v_cmp_lt_u32_e64 s[2:3], 31, v6
	s_nop 1
	v_cndmask_b32_e64 v12, 0, v9, s[2:3]
	v_add_u32_e32 v30, v12, v6
	global_load_dword v12, v[20:21], off
	v_and_b32_e32 v6, 0x7fffff, v5
	v_or_b32_e32 v28, 0x800000, v6
	v_mad_u64_u32 v[16:17], s[4:5], v28, s9, 0
	v_mov_b32_e32 v6, v17
	v_mad_u64_u32 v[18:19], s[4:5], v28, s12, v[6:7]
	v_mov_b32_e32 v6, v19
	v_mad_u64_u32 v[20:21], s[4:5], v28, s13, v[6:7]
	v_mov_b32_e32 v6, v21
	v_mad_u64_u32 v[22:23], s[4:5], v28, s14, v[6:7]
	v_mov_b32_e32 v6, v23
	v_mad_u64_u32 v[24:25], s[4:5], v28, s15, v[6:7]
	v_mov_b32_e32 v6, v25
	v_mad_u64_u32 v[26:27], s[4:5], v28, s16, v[6:7]
	v_mov_b32_e32 v6, v27
	v_mad_u64_u32 v[28:29], s[4:5], v28, s18, v[6:7]
	v_cndmask_b32_e32 v17, v26, v22, vcc
	v_cndmask_b32_e32 v6, v28, v24, vcc
	;; [unrolled: 1-line block ×3, first 2 shown]
	v_cndmask_b32_e64 v19, v6, v17, s[0:1]
	v_cndmask_b32_e64 v6, v21, v6, s[0:1]
	v_cndmask_b32_e32 v21, v24, v20, vcc
	v_cndmask_b32_e64 v17, v17, v21, s[0:1]
	v_cndmask_b32_e32 v18, v22, v18, vcc
	v_cndmask_b32_e64 v6, v6, v19, s[2:3]
	v_cndmask_b32_e64 v19, v19, v17, s[2:3]
	v_sub_u32_e32 v23, 32, v30
	v_cndmask_b32_e64 v21, v21, v18, s[0:1]
	v_alignbit_b32 v24, v6, v19, v23
	v_cmp_eq_u32_e64 s[4:5], 0, v30
	v_cndmask_b32_e64 v17, v17, v21, s[2:3]
	v_cndmask_b32_e32 v16, v20, v16, vcc
	v_cndmask_b32_e64 v6, v24, v6, s[4:5]
	v_alignbit_b32 v22, v19, v17, v23
	v_cndmask_b32_e64 v16, v18, v16, s[0:1]
	v_cndmask_b32_e64 v19, v22, v19, s[4:5]
	v_bfe_u32 v25, v6, 29, 1
	v_cndmask_b32_e64 v16, v21, v16, s[2:3]
	v_alignbit_b32 v22, v6, v19, 30
	v_sub_u32_e32 v26, 0, v25
	v_alignbit_b32 v18, v17, v16, v23
	v_xor_b32_e32 v22, v22, v26
	v_cndmask_b32_e64 v17, v18, v17, s[4:5]
	v_alignbit_b32 v18, v19, v17, 30
	v_ffbh_u32_e32 v19, v22
	v_min_u32_e32 v19, 32, v19
	v_alignbit_b32 v16, v17, v16, 30
	v_xor_b32_e32 v18, v18, v26
	v_sub_u32_e32 v20, 31, v19
	v_xor_b32_e32 v16, v16, v26
	v_alignbit_b32 v21, v22, v18, v20
	v_alignbit_b32 v16, v18, v16, v20
	;; [unrolled: 1-line block ×3, first 2 shown]
	v_ffbh_u32_e32 v18, v17
	v_min_u32_e32 v18, 32, v18
	v_lshrrev_b32_e32 v24, 29, v6
	v_not_b32_e32 v20, v18
	v_alignbit_b32 v16, v17, v16, v20
	v_lshlrev_b32_e32 v17, 31, v24
	v_or_b32_e32 v20, 0x33000000, v17
	v_add_lshl_u32 v18, v18, v19, 23
	v_lshrrev_b32_e32 v16, 9, v16
	v_sub_u32_e32 v18, v20, v18
	v_or_b32_e32 v17, 0.5, v17
	v_lshlrev_b32_e32 v19, 23, v19
	v_or_b32_e32 v16, v18, v16
	v_lshrrev_b32_e32 v18, 9, v21
	v_sub_u32_e32 v17, v17, v19
	v_or_b32_e32 v17, v18, v17
	v_lshrrev_b32_e32 v6, 30, v6
	v_mul_f32_e32 v18, 0x3fc90fda, v17
	v_add_u32_e32 v32, v25, v6
	v_mul_f32_e64 v6, |v3|, s19
	v_fma_f32 v19, v17, s17, -v18
	v_rndne_f32_e32 v6, v6
	v_fmac_f32_e32 v19, 0x33a22168, v17
	v_fma_f32 v33, v6, s24, |v3|
	v_fmac_f32_e32 v19, 0x3fc90fda, v16
	v_fmac_f32_e32 v33, 0xb3a22168, v6
	s_waitcnt vmcnt(0)
	v_and_b32_e32 v16, 0x7fffffff, v12
	v_fmac_f32_e32 v33, 0xa7c234c4, v6
	v_cvt_i32_f32_e32 v34, v6
	v_lshrrev_b32_e32 v6, 23, v16
	v_add_u32_e32 v6, 0xffffff88, v6
	v_cmp_lt_u32_e32 vcc, 63, v6
	v_add_f32_e32 v17, v18, v19
	s_nop 0
	v_cndmask_b32_e32 v10, 0, v10, vcc
	v_add_u32_e32 v6, v10, v6
	v_cmp_lt_u32_e64 s[0:1], 31, v6
	s_nop 1
	v_cndmask_b32_e64 v10, 0, v9, s[0:1]
	v_add_u32_e32 v6, v10, v6
	v_cmp_lt_u32_e64 s[2:3], 31, v6
	s_nop 1
	v_cndmask_b32_e64 v9, 0, v9, s[2:3]
	v_add_u32_e32 v9, v9, v6
	v_and_b32_e32 v6, 0x7fffff, v16
	v_or_b32_e32 v10, 0x800000, v6
	v_mad_u64_u32 v[18:19], s[4:5], v10, s9, 0
	v_mov_b32_e32 v6, v19
	v_mad_u64_u32 v[20:21], s[4:5], v10, s12, v[6:7]
	v_mov_b32_e32 v6, v21
	;; [unrolled: 2-line block ×6, first 2 shown]
	v_mad_u64_u32 v[30:31], s[4:5], v10, s18, v[6:7]
	v_cndmask_b32_e32 v19, v28, v24, vcc
	v_cndmask_b32_e32 v6, v30, v26, vcc
	;; [unrolled: 1-line block ×3, first 2 shown]
	v_cndmask_b32_e64 v10, v6, v19, s[0:1]
	v_cndmask_b32_e64 v6, v21, v6, s[0:1]
	v_cndmask_b32_e32 v21, v26, v22, vcc
	v_cndmask_b32_e64 v19, v19, v21, s[0:1]
	v_sub_u32_e32 v23, 32, v9
	v_cmp_eq_u32_e64 s[4:5], 0, v9
	v_cndmask_b32_e32 v9, v24, v20, vcc
	v_cndmask_b32_e64 v6, v6, v10, s[2:3]
	v_cndmask_b32_e64 v10, v10, v19, s[2:3]
	;; [unrolled: 1-line block ×3, first 2 shown]
	v_alignbit_b32 v25, v6, v10, v23
	v_cndmask_b32_e64 v19, v19, v20, s[2:3]
	v_cndmask_b32_e64 v6, v25, v6, s[4:5]
	v_alignbit_b32 v21, v10, v19, v23
	v_cndmask_b32_e32 v18, v22, v18, vcc
	v_cndmask_b32_e64 v10, v21, v10, s[4:5]
	v_bfe_u32 v25, v6, 29, 1
	v_cndmask_b32_e64 v9, v9, v18, s[0:1]
	v_alignbit_b32 v21, v6, v10, 30
	v_sub_u32_e32 v26, 0, v25
	v_cndmask_b32_e64 v9, v20, v9, s[2:3]
	v_xor_b32_e32 v21, v21, v26
	v_alignbit_b32 v18, v19, v9, v23
	v_cndmask_b32_e64 v18, v18, v19, s[4:5]
	v_ffbh_u32_e32 v19, v21
	v_alignbit_b32 v10, v10, v18, 30
	v_min_u32_e32 v19, 32, v19
	v_alignbit_b32 v9, v18, v9, 30
	v_xor_b32_e32 v10, v10, v26
	v_sub_u32_e32 v20, 31, v19
	v_xor_b32_e32 v9, v9, v26
	v_alignbit_b32 v21, v21, v10, v20
	v_alignbit_b32 v9, v10, v9, v20
	;; [unrolled: 1-line block ×3, first 2 shown]
	v_ffbh_u32_e32 v18, v10
	v_min_u32_e32 v18, 32, v18
	v_lshrrev_b32_e32 v24, 29, v6
	v_not_b32_e32 v20, v18
	v_alignbit_b32 v9, v10, v9, v20
	v_lshlrev_b32_e32 v10, 31, v24
	v_or_b32_e32 v20, 0x33000000, v10
	v_add_lshl_u32 v18, v18, v19, 23
	v_lshrrev_b32_e32 v9, 9, v9
	v_sub_u32_e32 v18, v20, v18
	v_or_b32_e32 v10, 0.5, v10
	v_lshlrev_b32_e32 v19, 23, v19
	v_or_b32_e32 v9, v18, v9
	v_lshrrev_b32_e32 v18, 9, v21
	v_sub_u32_e32 v10, v10, v19
	v_or_b32_e32 v10, v18, v10
	v_mul_f32_e32 v18, 0x3fc90fda, v10
	v_fma_f32 v19, v10, s17, -v18
	v_fmac_f32_e32 v19, 0x33a22168, v10
	v_mul_f32_e64 v10, |v12|, s19
	v_fmac_f32_e32 v19, 0x3fc90fda, v9
	v_rndne_f32_e32 v10, v10
	v_add_f32_e32 v9, v18, v19
	v_fma_f32 v18, v10, s24, |v12|
	v_fmac_f32_e32 v18, 0xb3a22168, v10
	v_fmac_f32_e32 v18, 0xa7c234c4, v10
	v_cvt_i32_f32_e32 v10, v10
	v_cmp_lt_f32_e64 vcc, |v2|, s8
	v_lshrrev_b32_e32 v6, 30, v6
	v_add_u32_e32 v6, v25, v6
	v_cndmask_b32_e32 v13, v13, v14, vcc
	v_cndmask_b32_e32 v11, v11, v15, vcc
	v_cmp_lt_f32_e64 vcc, |v3|, s8
	v_mov_b32_e32 v19, 0x3c0881c4
	v_mov_b32_e32 v21, 0xbab64f3b
	v_cndmask_b32_e32 v14, v17, v33, vcc
	v_cndmask_b32_e32 v15, v32, v34, vcc
	v_cmp_lt_f32_e64 vcc, |v12|, s8
	v_lshlrev_b32_e32 v25, 30, v11
	s_movk_i32 s3, 0x1f8
	v_cndmask_b32_e32 v17, v9, v18, vcc
	v_cndmask_b32_e32 v18, v6, v10, vcc
	v_mul_f32_e32 v6, v13, v13
	v_fmamk_f32 v9, v6, 0xb94c1982, v19
	v_fmaak_f32 v9, v6, v9, 0xbe2aaa9d
	v_mul_f32_e32 v9, v6, v9
	v_fmac_f32_e32 v13, v13, v9
	v_fmamk_f32 v9, v6, 0x37d75334, v21
	v_fmaak_f32 v9, v6, v9, 0x3d2aabf7
	v_fmaak_f32 v9, v6, v9, 0xbf000004
	v_fma_f32 v24, v6, v9, 1.0
	v_and_b32_e32 v6, 1, v11
	v_cmp_eq_u32_e32 vcc, 0, v6
	v_and_b32_e32 v9, 0x80000000, v25
	v_lshl_add_u64 v[10:11], s[48:49], 0, v[0:1]
	v_cndmask_b32_e32 v6, v24, v13, vcc
	v_xor_b32_e32 v6, v2, v6
	v_xor_b32_e32 v6, v6, v8
	;; [unrolled: 1-line block ×3, first 2 shown]
	v_lshl_add_u64 v[8:9], s[46:47], 0, v[0:1]
	v_lshl_add_u64 v[0:1], s[50:51], 0, v[0:1]
	global_load_dword v8, v[8:9], off
	v_cmp_class_f32_e64 s[0:1], v2, s3
	global_load_dword v6, v[10:11], off
	global_load_dword v9, v[0:1], off
	v_mul_f32_e32 v10, v14, v14
	v_fmamk_f32 v11, v10, 0xb94c1982, v19
	v_fmaak_f32 v11, v10, v11, 0xbe2aaa9d
	v_mul_f32_e32 v11, v10, v11
	v_fmac_f32_e32 v14, v14, v11
	v_fmamk_f32 v11, v10, 0x37d75334, v21
	v_fmaak_f32 v11, v10, v11, 0x3d2aabf7
	v_fmaak_f32 v11, v10, v11, 0xbf000004
	v_fma_f32 v10, v10, v11, 1.0
	v_and_b32_e32 v11, 1, v15
	v_cndmask_b32_e64 v2, -v13, v24, vcc
	v_cmp_eq_u32_e32 vcc, 0, v11
	s_brev_b32 s2, 1
	v_lshlrev_b32_e32 v13, 30, v15
	v_cndmask_b32_e32 v11, v10, v14, vcc
	v_xor_b32_e32 v11, v3, v11
	v_mov_b32_e32 v0, 0x7fc00000
	v_bitop3_b32 v2, v25, v2, s2 bitop3:0x6c
	v_and_b32_e32 v15, 0x80000000, v13
	v_xor_b32_e32 v5, v11, v5
	v_cndmask_b32_e64 v1, v0, v26, s[0:1]
	v_cndmask_b32_e64 v2, v0, v2, s[0:1]
	v_xor_b32_e32 v5, v5, v15
	v_cmp_class_f32_e64 s[0:1], v3, s3
	v_mov_b32_e32 v20, 0xbe2aaa9d
	v_mov_b32_e32 v22, 0x3d2aabf7
	v_cndmask_b32_e64 v11, v0, v5, s[0:1]
	v_mul_f32_e32 v5, v17, v17
	v_fmac_f32_e32 v19, 0xb94c1982, v5
	v_fmac_f32_e32 v20, v5, v19
	;; [unrolled: 1-line block ×3, first 2 shown]
	v_mov_b32_e32 v23, 0xbf000004
	v_cndmask_b32_e64 v3, -v14, v10, vcc
	v_mul_f32_e32 v10, v5, v20
	v_fmac_f32_e32 v22, v5, v21
	v_fmac_f32_e32 v17, v17, v10
	;; [unrolled: 1-line block ×3, first 2 shown]
	v_and_b32_e32 v10, 1, v18
	v_fma_f32 v5, v5, v23, 1.0
	v_cmp_eq_u32_e32 vcc, 0, v10
	v_bitop3_b32 v3, v13, v3, s2 bitop3:0x6c
	v_lshlrev_b32_e32 v13, 30, v18
	v_cndmask_b32_e32 v10, v5, v17, vcc
	v_xor_b32_e32 v10, v12, v10
	v_and_b32_e32 v14, 0x80000000, v13
	v_xor_b32_e32 v10, v10, v16
	v_cndmask_b32_e64 v3, v0, v3, s[0:1]
	v_xor_b32_e32 v10, v10, v14
	v_cmp_class_f32_e64 s[0:1], v12, s3
	v_cndmask_b32_e64 v5, -v17, v5, vcc
	v_bitop3_b32 v5, v13, v5, s2 bitop3:0x6c
	v_cndmask_b32_e64 v15, v0, v10, s[0:1]
	v_cndmask_b32_e64 v0, v0, v5, s[0:1]
	v_mul_f32_e32 v13, v1, v11
	v_mul_f32_e32 v5, v2, v15
	;; [unrolled: 1-line block ×4, first 2 shown]
	v_fma_f32 v12, v13, v0, -v5
	v_mul_f32_e32 v14, v16, v0
	v_mul_f32_e32 v20, v2, v0
	;; [unrolled: 1-line block ×3, first 2 shown]
	v_fmac_f32_e32 v14, v1, v15
	v_mul_f32_e32 v5, v3, v15
	v_fmac_f32_e32 v20, v13, v15
	v_fma_f32 v21, v16, v15, -v0
	v_mul_f32_e32 v13, v1, v3
	v_mul_f32_e32 v15, v2, v3
	v_mov_b32_e32 v23, 0x260
	v_mov_b32_e32 v24, 0x40b00000
	;; [unrolled: 1-line block ×6, first 2 shown]
	s_mov_b32 s24, s25
.LBB0_1:                                ; =>This Loop Header: Depth=1
                                        ;     Child Loop BB0_2 Depth 2
	s_lshl_b64 s[0:1], s[24:25], 4
	s_add_u32 s0, s38, s0
	s_addc_u32 s1, s39, s1
	global_load_dwordx4 v[16:19], v7, s[0:1]
	s_mov_b32 s36, s30
	s_mov_b64 s[28:29], s[26:27]
	s_waitcnt vmcnt(0)
	v_ashrrev_i32_e32 v1, 31, v19
	v_mov_b32_e32 v0, v19
	v_lshlrev_b64 v[0:1], 4, v[0:1]
	v_lshl_add_u64 v[0:1], s[22:23], 0, v[0:1]
	global_load_dwordx4 v[0:3], v[0:1], off
	v_pk_fma_f32 v[30:31], v[10:11], v[16:17], v[8:9]
	v_pk_fma_f32 v[32:33], v[10:11], v[16:17], v[8:9] op_sel_hi:[1,0,1] neg_lo:[1,0,0] neg_hi:[1,0,0]
	v_fma_f32 v28, v5, v16, v6
	v_mov_b32_e32 v31, v33
	v_fmac_f32_e32 v28, v20, v17
	v_pk_fma_f32 v[16:17], v[12:13], v[16:17], v[30:31] op_sel:[0,1,0]
	v_fmac_f32_e32 v28, v21, v18
	v_pk_fma_f32 v[16:17], v[14:15], v[18:19], v[16:17] op_sel_hi:[1,0,1]
	s_waitcnt vmcnt(0)
	v_cmp_gt_f32_e64 s[8:9], 0, v2
	v_mov_b32_e32 v18, v3
	v_cmp_lt_f32_e64 s[2:3], 0, v2
	v_cmp_eq_u32_e64 s[4:5], s33, v0
	v_cmp_eq_u32_e64 s[6:7], s34, v0
	v_cndmask_b32_e64 v0, 1.0, v24, s[8:9]
	v_cndmask_b32_e64 v3, v25, 1.0, s[8:9]
.LBB0_2:                                ;   Parent Loop BB0_1 Depth=1
                                        ; =>  This Inner Loop Header: Depth=2
	global_load_dwordx4 v[30:33], v7, s[28:29] offset:-8
	s_waitcnt vmcnt(0)
	v_ashrrev_i32_e32 v35, 31, v33
	v_mov_b32_e32 v34, v33
	v_lshlrev_b64 v[34:35], 4, v[34:35]
	v_lshl_add_u64 v[34:35], s[22:23], 0, v[34:35]
	global_load_dwordx4 v[34:37], v[34:35], off
	v_sub_f32_e32 v19, v28, v31
	v_mov_b32_e32 v31, v32
	v_pk_add_f32 v[30:31], v[16:17], v[30:31] neg_lo:[0,1] neg_hi:[0,1]
	s_waitcnt vmcnt(0)
	v_cmp_lt_f32_e64 s[12:13], 0, v36
	v_pk_mul_f32 v[30:31], v[30:31], v[30:31]
	v_cmp_gt_f32_e64 s[16:17], 0, v36
	v_fma_f32 v19, v19, v19, v30
	v_add_f32_e32 v19, v19, v31
	v_mul_f32_e32 v29, 0x4f800000, v19
	v_cmp_gt_f32_e32 vcc, s35, v19
	s_and_b64 s[12:13], s[12:13], s[8:9]
	v_cmp_neq_f32_e64 s[14:15], 0, v36
	v_cndmask_b32_e32 v19, v19, v29, vcc
	v_sqrt_f32_e32 v29, v19
	s_nop 0
	v_add_u32_e32 v30, -1, v29
	v_add_u32_e32 v31, 1, v29
	v_fma_f32 v32, -v30, v29, v19
	v_fma_f32 v33, -v31, v29, v19
	v_cmp_ge_f32_e64 s[0:1], 0, v32
	v_add_f32_e32 v32, v1, v35
	s_nop 0
	v_cndmask_b32_e64 v29, v29, v30, s[0:1]
	v_cmp_lt_f32_e64 s[0:1], 0, v33
	v_cndmask_b32_e64 v33, v3, v0, s[16:17]
	s_and_b64 s[16:17], s[16:17], s[2:3]
	v_cndmask_b32_e64 v29, v29, v31, s[0:1]
	v_mul_f32_e32 v30, 0x37800000, v29
	v_cndmask_b32_e32 v29, v29, v30, vcc
	v_cmp_class_f32_e32 vcc, v19, v23
	v_cmp_eq_u32_e64 s[0:1], s34, v34
	v_mov_b32_e32 v30, v37
	v_cndmask_b32_e32 v29, v29, v19, vcc
	v_cmp_eq_u32_e32 vcc, s33, v34
	v_div_scale_f32 v34, s[18:19], v32, v32, 1.0
	s_and_b64 vcc, vcc, s[4:5]
	v_cndmask_b32_e64 v31, v36, -v36, s[16:17]
	v_cndmask_b32_e64 v36, v2, -v2, s[12:13]
	v_div_scale_f32 v37, s[12:13], v33, v33, 1.0
	v_rcp_f32_e32 v40, v34
	v_cndmask_b32_e64 v19, 2.0, 4.0, vcc
	v_sub_f32_e32 v39, v29, v32
	v_cndmask_b32_e32 v41, 0.5, v26, vcc
	v_rcp_f32_e32 v42, v37
	v_add_f32_e32 v36, v31, v36
	v_cmp_gt_f32_e64 s[16:17], 0, v39
	v_cmp_lt_f32_e32 vcc, v39, v19
	v_fma_f32 v31, -v39, v41, 1.0
	v_cndmask_b32_e64 v31, v31, 1.0, s[16:17]
	v_cndmask_b32_e64 v19, 0, 1.0, vcc
	v_cmp_lt_f32_e32 vcc, v39, v33
	v_pk_mul_f32 v[30:31], v[18:19], v[30:31]
	v_fma_f32 v19, -v34, v40, 1.0
	v_div_scale_f32 v35, s[18:19], 1.0, v32, 1.0
	s_and_b64 s[14:15], s[14:15], vcc
	v_mul_f32_e32 v30, v30, v31
	s_or_b64 s[0:1], s[0:1], s[6:7]
	v_fma_f32 v31, -v37, v42, 1.0
	v_fmac_f32_e32 v40, v19, v40
	v_div_scale_f32 v38, s[12:13], 1.0, v33, 1.0
	v_cndmask_b32_e64 v41, 0, 1.0, s[14:15]
	v_fmac_f32_e32 v42, v31, v42
	v_cndmask_b32_e64 v19, v30, -|v30|, s[0:1]
	v_mul_f32_e32 v30, v35, v40
	v_mul_f32_e32 v36, v36, v41
	;; [unrolled: 1-line block ×3, first 2 shown]
	v_fma_f32 v41, -v34, v30, v35
	v_fma_f32 v44, -v37, v31, v38
	v_fmac_f32_e32 v30, v41, v40
	v_fmac_f32_e32 v31, v44, v42
	v_fma_f32 v34, -v34, v30, v35
	s_mov_b64 vcc, s[18:19]
	v_fma_f32 v35, -v37, v31, v38
	v_div_fmas_f32 v30, v34, v40, v30
	s_mov_b64 vcc, s[12:13]
	v_div_fixup_f32 v30, v30, v32, 1.0
	v_div_fmas_f32 v31, v35, v42, v31
	v_cndmask_b32_e64 v43, 0, v27, s[16:17]
	v_div_fixup_f32 v31, v31, v33, 1.0
	v_fma_f32 v29, -v29, v30, 1.0
	s_add_u32 s28, s28, 16
	v_fma_f32 v30, -v39, v31, 1.0
	v_fmac_f32_e32 v22, v29, v43
	s_addc_u32 s29, s29, 0
	s_add_i32 s36, s36, -1
	v_cndmask_b32_e64 v29, v30, 1.0, s[16:17]
	v_fmac_f32_e32 v22, 0x42340000, v19
	s_cmp_lg_u32 s36, 0
	v_fmac_f32_e32 v22, v36, v29
	s_cbranch_scc1 .LBB0_2
; %bb.3:                                ;   in Loop: Header=BB0_1 Depth=1
	s_add_i32 s24, s24, 1
	s_cmp_lg_u32 s24, s31
	s_cbranch_scc1 .LBB0_1
; %bb.4:
	s_and_saveexec_b64 s[0:1], s[10:11]
	s_cbranch_execz .LBB0_6
; %bb.5:
	v_mov_b32_e32 v0, s20
	v_mov_b32_e32 v1, s21
	;; [unrolled: 1-line block ×3, first 2 shown]
	v_mul_f32_e32 v2, 0.5, v22
	v_lshl_add_u64 v[0:1], v[4:5], 2, v[0:1]
	global_store_dword v[0:1], v2, off
.LBB0_6:
	s_endpgm
	.section	.rodata,"a",@progbits
	.p2align	6, 0x0
	.amdhsa_kernel _ZL11fasten_mainILm1EEviiPK4AtomS2_PKfS4_S4_S4_S4_S4_PfPK8FFParamsi
		.amdhsa_group_segment_fixed_size 0
		.amdhsa_private_segment_fixed_size 0
		.amdhsa_kernarg_size 352
		.amdhsa_user_sgpr_count 2
		.amdhsa_user_sgpr_dispatch_ptr 0
		.amdhsa_user_sgpr_queue_ptr 0
		.amdhsa_user_sgpr_kernarg_segment_ptr 1
		.amdhsa_user_sgpr_dispatch_id 0
		.amdhsa_user_sgpr_kernarg_preload_length 0
		.amdhsa_user_sgpr_kernarg_preload_offset 0
		.amdhsa_user_sgpr_private_segment_size 0
		.amdhsa_uses_dynamic_stack 0
		.amdhsa_enable_private_segment 0
		.amdhsa_system_sgpr_workgroup_id_x 1
		.amdhsa_system_sgpr_workgroup_id_y 0
		.amdhsa_system_sgpr_workgroup_id_z 0
		.amdhsa_system_sgpr_workgroup_info 0
		.amdhsa_system_vgpr_workitem_id 0
		.amdhsa_next_free_vgpr 45
		.amdhsa_next_free_sgpr 52
		.amdhsa_accum_offset 48
		.amdhsa_reserve_vcc 1
		.amdhsa_float_round_mode_32 0
		.amdhsa_float_round_mode_16_64 0
		.amdhsa_float_denorm_mode_32 3
		.amdhsa_float_denorm_mode_16_64 3
		.amdhsa_dx10_clamp 1
		.amdhsa_ieee_mode 1
		.amdhsa_fp16_overflow 0
		.amdhsa_tg_split 0
		.amdhsa_exception_fp_ieee_invalid_op 0
		.amdhsa_exception_fp_denorm_src 0
		.amdhsa_exception_fp_ieee_div_zero 0
		.amdhsa_exception_fp_ieee_overflow 0
		.amdhsa_exception_fp_ieee_underflow 0
		.amdhsa_exception_fp_ieee_inexact 0
		.amdhsa_exception_int_div_zero 0
	.end_amdhsa_kernel
	.section	.text._ZL11fasten_mainILm1EEviiPK4AtomS2_PKfS4_S4_S4_S4_S4_PfPK8FFParamsi,"axG",@progbits,_ZL11fasten_mainILm1EEviiPK4AtomS2_PKfS4_S4_S4_S4_S4_PfPK8FFParamsi,comdat
.Lfunc_end0:
	.size	_ZL11fasten_mainILm1EEviiPK4AtomS2_PKfS4_S4_S4_S4_S4_PfPK8FFParamsi, .Lfunc_end0-_ZL11fasten_mainILm1EEviiPK4AtomS2_PKfS4_S4_S4_S4_S4_PfPK8FFParamsi
                                        ; -- End function
	.set _ZL11fasten_mainILm1EEviiPK4AtomS2_PKfS4_S4_S4_S4_S4_PfPK8FFParamsi.num_vgpr, 45
	.set _ZL11fasten_mainILm1EEviiPK4AtomS2_PKfS4_S4_S4_S4_S4_PfPK8FFParamsi.num_agpr, 0
	.set _ZL11fasten_mainILm1EEviiPK4AtomS2_PKfS4_S4_S4_S4_S4_PfPK8FFParamsi.numbered_sgpr, 52
	.set _ZL11fasten_mainILm1EEviiPK4AtomS2_PKfS4_S4_S4_S4_S4_PfPK8FFParamsi.num_named_barrier, 0
	.set _ZL11fasten_mainILm1EEviiPK4AtomS2_PKfS4_S4_S4_S4_S4_PfPK8FFParamsi.private_seg_size, 0
	.set _ZL11fasten_mainILm1EEviiPK4AtomS2_PKfS4_S4_S4_S4_S4_PfPK8FFParamsi.uses_vcc, 1
	.set _ZL11fasten_mainILm1EEviiPK4AtomS2_PKfS4_S4_S4_S4_S4_PfPK8FFParamsi.uses_flat_scratch, 0
	.set _ZL11fasten_mainILm1EEviiPK4AtomS2_PKfS4_S4_S4_S4_S4_PfPK8FFParamsi.has_dyn_sized_stack, 0
	.set _ZL11fasten_mainILm1EEviiPK4AtomS2_PKfS4_S4_S4_S4_S4_PfPK8FFParamsi.has_recursion, 0
	.set _ZL11fasten_mainILm1EEviiPK4AtomS2_PKfS4_S4_S4_S4_S4_PfPK8FFParamsi.has_indirect_call, 0
	.section	.AMDGPU.csdata,"",@progbits
; Kernel info:
; codeLenInByte = 3484
; TotalNumSgprs: 58
; NumVgprs: 45
; NumAgprs: 0
; TotalNumVgprs: 45
; ScratchSize: 0
; MemoryBound: 0
; FloatMode: 240
; IeeeMode: 1
; LDSByteSize: 0 bytes/workgroup (compile time only)
; SGPRBlocks: 7
; VGPRBlocks: 5
; NumSGPRsForWavesPerEU: 58
; NumVGPRsForWavesPerEU: 45
; AccumOffset: 48
; Occupancy: 8
; WaveLimiterHint : 1
; COMPUTE_PGM_RSRC2:SCRATCH_EN: 0
; COMPUTE_PGM_RSRC2:USER_SGPR: 2
; COMPUTE_PGM_RSRC2:TRAP_HANDLER: 0
; COMPUTE_PGM_RSRC2:TGID_X_EN: 1
; COMPUTE_PGM_RSRC2:TGID_Y_EN: 0
; COMPUTE_PGM_RSRC2:TGID_Z_EN: 0
; COMPUTE_PGM_RSRC2:TIDIG_COMP_CNT: 0
; COMPUTE_PGM_RSRC3_GFX90A:ACCUM_OFFSET: 11
; COMPUTE_PGM_RSRC3_GFX90A:TG_SPLIT: 0
	.section	.text._ZL11fasten_mainILm2EEviiPK4AtomS2_PKfS4_S4_S4_S4_S4_PfPK8FFParamsi,"axG",@progbits,_ZL11fasten_mainILm2EEviiPK4AtomS2_PKfS4_S4_S4_S4_S4_PfPK8FFParamsi,comdat
	.globl	_ZL11fasten_mainILm2EEviiPK4AtomS2_PKfS4_S4_S4_S4_S4_PfPK8FFParamsi ; -- Begin function _ZL11fasten_mainILm2EEviiPK4AtomS2_PKfS4_S4_S4_S4_S4_PfPK8FFParamsi
	.p2align	8
	.type	_ZL11fasten_mainILm2EEviiPK4AtomS2_PKfS4_S4_S4_S4_S4_PfPK8FFParamsi,@function
_ZL11fasten_mainILm2EEviiPK4AtomS2_PKfS4_S4_S4_S4_S4_PfPK8FFParamsi: ; @_ZL11fasten_mainILm2EEviiPK4AtomS2_PKfS4_S4_S4_S4_S4_PfPK8FFParamsi
; %bb.0:
	s_load_dword s3, s[0:1], 0x6c
	s_load_dword s4, s[0:1], 0x58
	s_load_dwordx16 s[36:51], s[0:1], 0x8
	s_mov_b32 s18, 48
	s_mov_b32 s31, 0
	s_waitcnt lgkmcnt(0)
	s_and_b32 s29, s3, 0xffff
	s_mul_i32 s2, s2, s29
	v_lshl_add_u32 v24, s2, 1, v0
	s_add_i32 s2, s4, -2
	v_mov_b32_e32 v0, s2
	v_cmp_gt_i32_e64 s[2:3], s4, v24
	s_mov_b32 s11, 0
	s_mov_b64 s[12:13], -1
	v_cndmask_b32_e64 v0, v0, v24, s[2:3]
	v_ashrrev_i32_e32 v1, 31, v0
	v_mov_b32_e32 v3, 0
	v_mov_b32_e32 v26, 0
	s_brev_b32 s19, 18
	s_mov_b32 s20, 0xfe5163ab
	s_mov_b32 s21, 0x3c439041
	;; [unrolled: 1-line block ×10, first 2 shown]
	v_mov_b32_e32 v6, 0x3c0881c4
	v_mov_b32_e32 v7, 0xbab64f3b
	s_brev_b32 s33, 1
	s_movk_i32 s34, 0x1f8
	v_not_b32_e32 v8, 63
	v_not_b32_e32 v9, 31
	v_mov_b32_e32 v10, 0x7fc00000
	s_mov_b32 s35, 0
	v_mov_b32_e32 v27, 0
                                        ; implicit-def: $vgpr2
                                        ; implicit-def: $vgpr2
	;; [unrolled: 1-line block ×3, first 2 shown]
.LBB1_1:                                ; =>This Inner Loop Header: Depth=1
	s_mul_i32 s10, s35, s29
	v_lshl_add_u64 v[4:5], s[10:11], 0, v[0:1]
	v_lshl_add_u64 v[12:13], v[4:5], 2, s[40:41]
	global_load_dword v11, v[12:13], off
                                        ; implicit-def: $vgpr14
	s_waitcnt vmcnt(0)
	v_and_b32_e32 v12, 0x7fffffff, v11
	v_lshrrev_b32_e32 v2, 23, v12
	v_and_b32_e32 v13, 0x7fffff, v12
	v_cmp_nlt_f32_e64 s[14:15], |v11|, s19
	v_add_u32_e32 v18, 0xffffff88, v2
	v_or_b32_e32 v17, 0x800000, v13
                                        ; implicit-def: $vgpr13
	s_and_saveexec_b64 s[4:5], s[14:15]
	s_xor_b64 s[16:17], exec, s[4:5]
	s_cbranch_execz .LBB1_3
; %bb.2:                                ;   in Loop: Header=BB1_1 Depth=1
	v_cmp_lt_u32_e32 vcc, 63, v18
	v_mad_u64_u32 v[14:15], s[8:9], v17, s20, 0
	s_nop 0
	v_cndmask_b32_e32 v2, 0, v8, vcc
	v_add_u32_e32 v2, v2, v18
	v_cmp_lt_u32_e64 s[4:5], 31, v2
	s_nop 1
	v_cndmask_b32_e64 v13, 0, v9, s[4:5]
	v_add_u32_e32 v2, v13, v2
	v_cmp_lt_u32_e64 s[6:7], 31, v2
	s_nop 1
	v_cndmask_b32_e64 v13, 0, v9, s[6:7]
	v_add_u32_e32 v13, v13, v2
	v_mov_b32_e32 v2, v15
	v_mad_u64_u32 v[20:21], s[8:9], v17, s21, v[2:3]
	v_mov_b32_e32 v2, v21
	v_mad_u64_u32 v[22:23], s[8:9], v17, s22, v[2:3]
	;; [unrolled: 2-line block ×6, first 2 shown]
	v_cndmask_b32_e32 v15, v32, v28, vcc
	v_cndmask_b32_e32 v2, v34, v30, vcc
	;; [unrolled: 1-line block ×3, first 2 shown]
	v_cndmask_b32_e64 v16, v2, v15, s[4:5]
	v_cndmask_b32_e64 v2, v19, v2, s[4:5]
	v_cndmask_b32_e32 v19, v30, v22, vcc
	v_cndmask_b32_e64 v15, v15, v19, s[4:5]
	v_sub_u32_e32 v21, 32, v13
	v_cmp_eq_u32_e64 s[8:9], 0, v13
	v_cndmask_b32_e32 v13, v28, v20, vcc
	v_cndmask_b32_e64 v2, v2, v16, s[6:7]
	v_cndmask_b32_e64 v16, v16, v15, s[6:7]
	;; [unrolled: 1-line block ×3, first 2 shown]
	v_alignbit_b32 v23, v2, v16, v21
	v_cndmask_b32_e64 v15, v15, v19, s[6:7]
	v_cndmask_b32_e32 v14, v22, v14, vcc
	v_cndmask_b32_e64 v2, v23, v2, s[8:9]
	v_alignbit_b32 v20, v16, v15, v21
	v_cndmask_b32_e64 v13, v13, v14, s[4:5]
	v_cndmask_b32_e64 v16, v20, v16, s[8:9]
	v_bfe_u32 v25, v2, 29, 1
	v_cndmask_b32_e64 v13, v19, v13, s[6:7]
	v_alignbit_b32 v20, v2, v16, 30
	v_sub_u32_e32 v28, 0, v25
	v_alignbit_b32 v14, v15, v13, v21
	v_xor_b32_e32 v20, v20, v28
	v_cndmask_b32_e64 v14, v14, v15, s[8:9]
	v_alignbit_b32 v15, v16, v14, 30
	v_ffbh_u32_e32 v16, v20
	v_min_u32_e32 v16, 32, v16
	v_alignbit_b32 v13, v14, v13, 30
	v_xor_b32_e32 v15, v15, v28
	v_sub_u32_e32 v19, 31, v16
	v_xor_b32_e32 v13, v13, v28
	v_alignbit_b32 v20, v20, v15, v19
	v_alignbit_b32 v13, v15, v13, v19
	;; [unrolled: 1-line block ×3, first 2 shown]
	v_ffbh_u32_e32 v15, v14
	v_min_u32_e32 v15, 32, v15
	v_lshrrev_b32_e32 v23, 29, v2
	v_not_b32_e32 v19, v15
	v_alignbit_b32 v13, v14, v13, v19
	v_lshlrev_b32_e32 v14, 31, v23
	v_or_b32_e32 v19, 0x33000000, v14
	v_add_lshl_u32 v15, v15, v16, 23
	v_lshrrev_b32_e32 v13, 9, v13
	v_sub_u32_e32 v15, v19, v15
	v_or_b32_e32 v14, 0.5, v14
	v_lshlrev_b32_e32 v16, 23, v16
	v_or_b32_e32 v13, v15, v13
	v_lshrrev_b32_e32 v15, 9, v20
	v_sub_u32_e32 v14, v14, v16
	v_or_b32_e32 v14, v15, v14
	v_mul_f32_e32 v15, 0x3fc90fda, v14
	v_fma_f32 v16, v14, s27, -v15
	v_fmac_f32_e32 v16, 0x33a22168, v14
	v_fmac_f32_e32 v16, 0x3fc90fda, v13
	v_lshrrev_b32_e32 v2, 30, v2
	v_add_f32_e32 v14, v15, v16
	v_add_u32_e32 v13, v25, v2
.LBB1_3:                                ;   in Loop: Header=BB1_1 Depth=1
	s_or_saveexec_b64 s[4:5], s[16:17]
	v_mul_f32_e64 v2, |v11|, s28
	v_rndne_f32_e32 v2, v2
	s_xor_b64 exec, exec, s[4:5]
; %bb.4:                                ;   in Loop: Header=BB1_1 Depth=1
	v_cvt_i32_f32_e32 v13, v2
	v_fma_f32 v14, v2, s30, |v11|
	v_fmac_f32_e32 v14, 0xb3a22168, v2
	v_fmac_f32_e32 v14, 0xa7c234c4, v2
; %bb.5:                                ;   in Loop: Header=BB1_1 Depth=1
	s_or_b64 exec, exec, s[4:5]
                                        ; implicit-def: $vgpr15
                                        ; implicit-def: $vgpr16
	s_and_saveexec_b64 s[4:5], s[14:15]
	s_xor_b64 s[14:15], exec, s[4:5]
	s_cbranch_execz .LBB1_7
; %bb.6:                                ;   in Loop: Header=BB1_1 Depth=1
	v_cmp_lt_u32_e32 vcc, 63, v18
	s_nop 1
	v_cndmask_b32_e32 v2, 0, v8, vcc
	v_add_u32_e32 v2, v2, v18
	v_cmp_lt_u32_e64 s[4:5], 31, v2
	v_mad_u64_u32 v[18:19], s[8:9], v17, s20, 0
	s_nop 0
	v_cndmask_b32_e64 v15, 0, v9, s[4:5]
	v_add_u32_e32 v2, v15, v2
	v_cmp_lt_u32_e64 s[6:7], 31, v2
	s_nop 1
	v_cndmask_b32_e64 v15, 0, v9, s[6:7]
	v_add_u32_e32 v15, v15, v2
	v_mov_b32_e32 v2, v19
	v_mad_u64_u32 v[20:21], s[8:9], v17, s21, v[2:3]
	v_mov_b32_e32 v2, v21
	v_mad_u64_u32 v[22:23], s[8:9], v17, s22, v[2:3]
	;; [unrolled: 2-line block ×6, first 2 shown]
	v_cndmask_b32_e32 v19, v32, v28, vcc
	v_cndmask_b32_e32 v2, v16, v30, vcc
	;; [unrolled: 1-line block ×3, first 2 shown]
	v_cndmask_b32_e64 v16, v2, v19, s[4:5]
	v_cndmask_b32_e64 v2, v17, v2, s[4:5]
	v_cndmask_b32_e32 v17, v30, v22, vcc
	v_cndmask_b32_e64 v19, v19, v17, s[4:5]
	v_sub_u32_e32 v21, 32, v15
	v_cmp_eq_u32_e64 s[8:9], 0, v15
	v_cndmask_b32_e32 v15, v28, v20, vcc
	v_cndmask_b32_e64 v2, v2, v16, s[6:7]
	v_cndmask_b32_e64 v16, v16, v19, s[6:7]
	;; [unrolled: 1-line block ×3, first 2 shown]
	v_alignbit_b32 v23, v2, v16, v21
	v_cndmask_b32_e64 v19, v19, v17, s[6:7]
	v_cndmask_b32_e64 v2, v23, v2, s[8:9]
	v_alignbit_b32 v20, v16, v19, v21
	v_cndmask_b32_e32 v18, v22, v18, vcc
	v_cndmask_b32_e64 v16, v20, v16, s[8:9]
	v_bfe_u32 v25, v2, 29, 1
	v_cndmask_b32_e64 v15, v15, v18, s[4:5]
	v_alignbit_b32 v20, v2, v16, 30
	v_sub_u32_e32 v28, 0, v25
	v_cndmask_b32_e64 v15, v17, v15, s[6:7]
	v_xor_b32_e32 v20, v20, v28
	v_alignbit_b32 v17, v19, v15, v21
	v_cndmask_b32_e64 v17, v17, v19, s[8:9]
	v_ffbh_u32_e32 v18, v20
	v_alignbit_b32 v16, v16, v17, 30
	v_min_u32_e32 v18, 32, v18
	v_alignbit_b32 v15, v17, v15, 30
	v_xor_b32_e32 v16, v16, v28
	v_sub_u32_e32 v19, 31, v18
	v_xor_b32_e32 v15, v15, v28
	v_alignbit_b32 v20, v20, v16, v19
	v_alignbit_b32 v15, v16, v15, v19
	;; [unrolled: 1-line block ×3, first 2 shown]
	v_ffbh_u32_e32 v17, v16
	v_min_u32_e32 v17, 32, v17
	v_lshrrev_b32_e32 v23, 29, v2
	v_not_b32_e32 v19, v17
	v_alignbit_b32 v15, v16, v15, v19
	v_lshlrev_b32_e32 v16, 31, v23
	v_or_b32_e32 v19, 0x33000000, v16
	v_add_lshl_u32 v17, v17, v18, 23
	v_lshrrev_b32_e32 v15, 9, v15
	v_sub_u32_e32 v17, v19, v17
	v_or_b32_e32 v16, 0.5, v16
	v_lshlrev_b32_e32 v18, 23, v18
	v_or_b32_e32 v15, v17, v15
	v_lshrrev_b32_e32 v17, 9, v20
	v_sub_u32_e32 v16, v16, v18
	v_or_b32_e32 v16, v17, v16
	v_mul_f32_e32 v17, 0x3fc90fda, v16
	v_fma_f32 v18, v16, s27, -v17
	v_fmac_f32_e32 v18, 0x33a22168, v16
	v_fmac_f32_e32 v18, 0x3fc90fda, v15
	v_lshrrev_b32_e32 v2, 30, v2
	v_add_f32_e32 v16, v17, v18
	v_add_u32_e32 v15, v25, v2
                                        ; implicit-def: $vgpr2
	s_andn2_saveexec_b64 s[4:5], s[14:15]
	s_cbranch_execnz .LBB1_8
	s_branch .LBB1_9
.LBB1_7:                                ;   in Loop: Header=BB1_1 Depth=1
	s_andn2_saveexec_b64 s[4:5], s[14:15]
.LBB1_8:                                ;   in Loop: Header=BB1_1 Depth=1
	v_cvt_i32_f32_e32 v15, v2
	v_fma_f32 v16, v2, s30, |v11|
	v_fmac_f32_e32 v16, 0xb3a22168, v2
	v_fmac_f32_e32 v16, 0xa7c234c4, v2
.LBB1_9:                                ;   in Loop: Header=BB1_1 Depth=1
	s_or_b64 exec, exec, s[4:5]
	v_lshl_add_u64 v[18:19], v[4:5], 2, s[42:43]
	global_load_dword v17, v[18:19], off
                                        ; implicit-def: $vgpr20
	s_waitcnt vmcnt(0)
	v_and_b32_e32 v18, 0x7fffffff, v17
	v_lshrrev_b32_e32 v2, 23, v18
	v_and_b32_e32 v19, 0x7fffff, v18
	v_cmp_nlt_f32_e64 s[14:15], |v17|, s19
	v_add_u32_e32 v25, 0xffffff88, v2
	v_or_b32_e32 v23, 0x800000, v19
                                        ; implicit-def: $vgpr19
	s_and_saveexec_b64 s[4:5], s[14:15]
	s_xor_b64 s[16:17], exec, s[4:5]
	s_cbranch_execz .LBB1_11
; %bb.10:                               ;   in Loop: Header=BB1_1 Depth=1
	v_cmp_lt_u32_e32 vcc, 63, v25
	v_mad_u64_u32 v[20:21], s[8:9], v23, s20, 0
	s_nop 0
	v_cndmask_b32_e32 v2, 0, v8, vcc
	v_add_u32_e32 v2, v2, v25
	v_cmp_lt_u32_e64 s[4:5], 31, v2
	s_nop 1
	v_cndmask_b32_e64 v19, 0, v9, s[4:5]
	v_add_u32_e32 v2, v19, v2
	v_cmp_lt_u32_e64 s[6:7], 31, v2
	s_nop 1
	v_cndmask_b32_e64 v19, 0, v9, s[6:7]
	v_add_u32_e32 v19, v19, v2
	v_mov_b32_e32 v2, v21
	v_mad_u64_u32 v[28:29], s[8:9], v23, s21, v[2:3]
	v_mov_b32_e32 v2, v29
	v_mad_u64_u32 v[30:31], s[8:9], v23, s22, v[2:3]
	v_mov_b32_e32 v2, v31
	v_mad_u64_u32 v[32:33], s[8:9], v23, s23, v[2:3]
	v_mov_b32_e32 v2, v33
	v_mad_u64_u32 v[34:35], s[8:9], v23, s24, v[2:3]
	v_mov_b32_e32 v2, v35
	v_mad_u64_u32 v[36:37], s[8:9], v23, s25, v[2:3]
	v_mov_b32_e32 v2, v37
	v_mad_u64_u32 v[38:39], s[8:9], v23, s26, v[2:3]
	v_cndmask_b32_e32 v21, v36, v32, vcc
	v_cndmask_b32_e32 v2, v38, v34, vcc
	;; [unrolled: 1-line block ×3, first 2 shown]
	v_cndmask_b32_e64 v22, v2, v21, s[4:5]
	v_cndmask_b32_e64 v2, v29, v2, s[4:5]
	v_cndmask_b32_e32 v29, v34, v30, vcc
	v_cndmask_b32_e64 v21, v21, v29, s[4:5]
	v_sub_u32_e32 v31, 32, v19
	v_cmp_eq_u32_e64 s[8:9], 0, v19
	v_cndmask_b32_e32 v19, v32, v28, vcc
	v_cndmask_b32_e64 v2, v2, v22, s[6:7]
	v_cndmask_b32_e64 v22, v22, v21, s[6:7]
	;; [unrolled: 1-line block ×3, first 2 shown]
	v_alignbit_b32 v33, v2, v22, v31
	v_cndmask_b32_e64 v21, v21, v28, s[6:7]
	v_cndmask_b32_e32 v20, v30, v20, vcc
	v_cndmask_b32_e64 v2, v33, v2, s[8:9]
	v_alignbit_b32 v29, v22, v21, v31
	v_cndmask_b32_e64 v19, v19, v20, s[4:5]
	v_cndmask_b32_e64 v22, v29, v22, s[8:9]
	v_bfe_u32 v33, v2, 29, 1
	v_cndmask_b32_e64 v19, v28, v19, s[6:7]
	v_alignbit_b32 v29, v2, v22, 30
	v_sub_u32_e32 v34, 0, v33
	v_alignbit_b32 v20, v21, v19, v31
	v_xor_b32_e32 v29, v29, v34
	v_cndmask_b32_e64 v20, v20, v21, s[8:9]
	v_alignbit_b32 v21, v22, v20, 30
	v_ffbh_u32_e32 v22, v29
	v_min_u32_e32 v22, 32, v22
	v_alignbit_b32 v19, v20, v19, 30
	v_xor_b32_e32 v21, v21, v34
	v_sub_u32_e32 v28, 31, v22
	v_xor_b32_e32 v19, v19, v34
	v_alignbit_b32 v29, v29, v21, v28
	v_alignbit_b32 v19, v21, v19, v28
	v_alignbit_b32 v20, v29, v19, 9
	v_ffbh_u32_e32 v21, v20
	v_min_u32_e32 v21, 32, v21
	v_lshrrev_b32_e32 v32, 29, v2
	v_not_b32_e32 v28, v21
	v_alignbit_b32 v19, v20, v19, v28
	v_lshlrev_b32_e32 v20, 31, v32
	v_or_b32_e32 v28, 0x33000000, v20
	v_add_lshl_u32 v21, v21, v22, 23
	v_lshrrev_b32_e32 v19, 9, v19
	v_sub_u32_e32 v21, v28, v21
	v_or_b32_e32 v20, 0.5, v20
	v_lshlrev_b32_e32 v22, 23, v22
	v_or_b32_e32 v19, v21, v19
	v_lshrrev_b32_e32 v21, 9, v29
	v_sub_u32_e32 v20, v20, v22
	v_or_b32_e32 v20, v21, v20
	v_mul_f32_e32 v21, 0x3fc90fda, v20
	v_fma_f32 v22, v20, s27, -v21
	v_fmac_f32_e32 v22, 0x33a22168, v20
	v_fmac_f32_e32 v22, 0x3fc90fda, v19
	v_lshrrev_b32_e32 v2, 30, v2
	v_add_f32_e32 v20, v21, v22
	v_add_u32_e32 v19, v33, v2
.LBB1_11:                               ;   in Loop: Header=BB1_1 Depth=1
	s_or_saveexec_b64 s[4:5], s[16:17]
	v_mul_f32_e64 v2, |v17|, s28
	v_rndne_f32_e32 v2, v2
	s_xor_b64 exec, exec, s[4:5]
; %bb.12:                               ;   in Loop: Header=BB1_1 Depth=1
	v_cvt_i32_f32_e32 v19, v2
	v_fma_f32 v20, v2, s30, |v17|
	v_fmac_f32_e32 v20, 0xb3a22168, v2
	v_fmac_f32_e32 v20, 0xa7c234c4, v2
; %bb.13:                               ;   in Loop: Header=BB1_1 Depth=1
	s_or_b64 exec, exec, s[4:5]
                                        ; implicit-def: $vgpr21
                                        ; implicit-def: $vgpr22
	s_and_saveexec_b64 s[4:5], s[14:15]
	s_xor_b64 s[14:15], exec, s[4:5]
	s_cbranch_execz .LBB1_15
; %bb.14:                               ;   in Loop: Header=BB1_1 Depth=1
	v_cmp_lt_u32_e32 vcc, 63, v25
	v_mad_u64_u32 v[28:29], s[8:9], v23, s20, 0
	s_nop 0
	v_cndmask_b32_e32 v2, 0, v8, vcc
	v_add_u32_e32 v2, v2, v25
	v_cmp_lt_u32_e64 s[4:5], 31, v2
	s_nop 1
	v_cndmask_b32_e64 v21, 0, v9, s[4:5]
	v_add_u32_e32 v2, v21, v2
	v_cmp_lt_u32_e64 s[6:7], 31, v2
	s_nop 1
	v_cndmask_b32_e64 v21, 0, v9, s[6:7]
	v_add_u32_e32 v21, v21, v2
	v_mov_b32_e32 v2, v29
	v_mad_u64_u32 v[30:31], s[8:9], v23, s21, v[2:3]
	v_mov_b32_e32 v2, v31
	v_mad_u64_u32 v[32:33], s[8:9], v23, s22, v[2:3]
	;; [unrolled: 2-line block ×6, first 2 shown]
	v_cndmask_b32_e32 v25, v38, v34, vcc
	v_cndmask_b32_e32 v2, v22, v36, vcc
	;; [unrolled: 1-line block ×3, first 2 shown]
	v_cndmask_b32_e64 v22, v2, v25, s[4:5]
	v_cndmask_b32_e64 v2, v23, v2, s[4:5]
	v_cndmask_b32_e32 v23, v36, v32, vcc
	v_cndmask_b32_e64 v25, v25, v23, s[4:5]
	v_sub_u32_e32 v29, 32, v21
	v_cmp_eq_u32_e64 s[8:9], 0, v21
	v_cndmask_b32_e32 v21, v34, v30, vcc
	v_cndmask_b32_e64 v2, v2, v22, s[6:7]
	v_cndmask_b32_e64 v22, v22, v25, s[6:7]
	;; [unrolled: 1-line block ×3, first 2 shown]
	v_alignbit_b32 v31, v2, v22, v29
	v_cndmask_b32_e64 v25, v25, v23, s[6:7]
	v_cndmask_b32_e64 v2, v31, v2, s[8:9]
	v_alignbit_b32 v30, v22, v25, v29
	v_cndmask_b32_e32 v28, v32, v28, vcc
	v_cndmask_b32_e64 v22, v30, v22, s[8:9]
	v_bfe_u32 v33, v2, 29, 1
	v_cndmask_b32_e64 v21, v21, v28, s[4:5]
	v_alignbit_b32 v30, v2, v22, 30
	v_sub_u32_e32 v34, 0, v33
	v_cndmask_b32_e64 v21, v23, v21, s[6:7]
	v_xor_b32_e32 v30, v30, v34
	v_alignbit_b32 v23, v25, v21, v29
	v_cndmask_b32_e64 v23, v23, v25, s[8:9]
	v_ffbh_u32_e32 v25, v30
	v_alignbit_b32 v22, v22, v23, 30
	v_min_u32_e32 v25, 32, v25
	v_alignbit_b32 v21, v23, v21, 30
	v_xor_b32_e32 v22, v22, v34
	v_sub_u32_e32 v28, 31, v25
	v_xor_b32_e32 v21, v21, v34
	v_alignbit_b32 v29, v30, v22, v28
	v_alignbit_b32 v21, v22, v21, v28
	;; [unrolled: 1-line block ×3, first 2 shown]
	v_ffbh_u32_e32 v23, v22
	v_min_u32_e32 v23, 32, v23
	v_lshrrev_b32_e32 v31, 29, v2
	v_not_b32_e32 v28, v23
	v_alignbit_b32 v21, v22, v21, v28
	v_lshlrev_b32_e32 v22, 31, v31
	v_or_b32_e32 v28, 0x33000000, v22
	v_add_lshl_u32 v23, v23, v25, 23
	v_lshrrev_b32_e32 v21, 9, v21
	v_sub_u32_e32 v23, v28, v23
	v_or_b32_e32 v22, 0.5, v22
	v_lshlrev_b32_e32 v25, 23, v25
	v_or_b32_e32 v21, v23, v21
	v_lshrrev_b32_e32 v23, 9, v29
	v_sub_u32_e32 v22, v22, v25
	v_or_b32_e32 v22, v23, v22
	v_mul_f32_e32 v23, 0x3fc90fda, v22
	v_fma_f32 v25, v22, s27, -v23
	v_fmac_f32_e32 v25, 0x33a22168, v22
	v_fmac_f32_e32 v25, 0x3fc90fda, v21
	v_lshrrev_b32_e32 v2, 30, v2
	v_add_f32_e32 v22, v23, v25
	v_add_u32_e32 v21, v33, v2
                                        ; implicit-def: $vgpr2
	s_andn2_saveexec_b64 s[4:5], s[14:15]
	s_cbranch_execnz .LBB1_16
	s_branch .LBB1_17
.LBB1_15:                               ;   in Loop: Header=BB1_1 Depth=1
	s_andn2_saveexec_b64 s[4:5], s[14:15]
.LBB1_16:                               ;   in Loop: Header=BB1_1 Depth=1
	v_cvt_i32_f32_e32 v21, v2
	v_fma_f32 v22, v2, s30, |v17|
	v_fmac_f32_e32 v22, 0xb3a22168, v2
	v_fmac_f32_e32 v22, 0xa7c234c4, v2
.LBB1_17:                               ;   in Loop: Header=BB1_1 Depth=1
	s_or_b64 exec, exec, s[4:5]
	v_lshl_add_u64 v[28:29], v[4:5], 2, s[44:45]
	global_load_dword v23, v[28:29], off
                                        ; implicit-def: $vgpr30
                                        ; implicit-def: $vgpr31
	s_waitcnt vmcnt(0)
	v_and_b32_e32 v25, 0x7fffffff, v23
	v_lshrrev_b32_e32 v2, 23, v25
	v_and_b32_e32 v28, 0x7fffff, v25
	v_cmp_nlt_f32_e64 s[14:15], |v23|, s19
	v_add_u32_e32 v33, 0xffffff88, v2
	v_or_b32_e32 v32, 0x800000, v28
	s_and_saveexec_b64 s[4:5], s[14:15]
	s_xor_b64 s[16:17], exec, s[4:5]
	s_cbranch_execz .LBB1_19
; %bb.18:                               ;   in Loop: Header=BB1_1 Depth=1
	v_cmp_lt_u32_e32 vcc, 63, v33
	s_nop 1
	v_cndmask_b32_e32 v2, 0, v8, vcc
	v_add_u32_e32 v2, v2, v33
	v_cmp_lt_u32_e64 s[4:5], 31, v2
	s_nop 1
	v_cndmask_b32_e64 v28, 0, v9, s[4:5]
	v_add_u32_e32 v2, v28, v2
	v_cmp_lt_u32_e64 s[6:7], 31, v2
	s_nop 1
	v_cndmask_b32_e64 v28, 0, v9, s[6:7]
	v_add_u32_e32 v44, v28, v2
	v_mad_u64_u32 v[28:29], s[8:9], v32, s20, 0
	v_mov_b32_e32 v2, v29
	v_mad_u64_u32 v[30:31], s[8:9], v32, s21, v[2:3]
	v_mov_b32_e32 v2, v31
	;; [unrolled: 2-line block ×6, first 2 shown]
	v_mad_u64_u32 v[42:43], s[8:9], v32, s26, v[2:3]
	v_cndmask_b32_e32 v29, v40, v36, vcc
	v_cndmask_b32_e32 v2, v42, v38, vcc
	;; [unrolled: 1-line block ×3, first 2 shown]
	v_cndmask_b32_e64 v31, v2, v29, s[4:5]
	v_cndmask_b32_e64 v2, v35, v2, s[4:5]
	v_cndmask_b32_e32 v35, v38, v34, vcc
	v_cndmask_b32_e64 v29, v29, v35, s[4:5]
	v_cndmask_b32_e32 v30, v36, v30, vcc
	v_cndmask_b32_e64 v2, v2, v31, s[6:7]
	v_cndmask_b32_e64 v31, v31, v29, s[6:7]
	v_sub_u32_e32 v37, 32, v44
	v_cndmask_b32_e64 v35, v35, v30, s[4:5]
	v_alignbit_b32 v38, v2, v31, v37
	v_cmp_eq_u32_e64 s[8:9], 0, v44
	v_cndmask_b32_e64 v29, v29, v35, s[6:7]
	v_cndmask_b32_e32 v28, v34, v28, vcc
	v_cndmask_b32_e64 v2, v38, v2, s[8:9]
	v_alignbit_b32 v36, v31, v29, v37
	v_cndmask_b32_e64 v28, v30, v28, s[4:5]
	v_cndmask_b32_e64 v31, v36, v31, s[8:9]
	v_bfe_u32 v39, v2, 29, 1
	v_cndmask_b32_e64 v28, v35, v28, s[6:7]
	v_alignbit_b32 v36, v2, v31, 30
	v_sub_u32_e32 v40, 0, v39
	v_alignbit_b32 v30, v29, v28, v37
	v_xor_b32_e32 v36, v36, v40
	v_cndmask_b32_e64 v29, v30, v29, s[8:9]
	v_alignbit_b32 v30, v31, v29, 30
	v_ffbh_u32_e32 v31, v36
	v_min_u32_e32 v31, 32, v31
	v_alignbit_b32 v28, v29, v28, 30
	v_xor_b32_e32 v30, v30, v40
	v_sub_u32_e32 v34, 31, v31
	v_xor_b32_e32 v28, v28, v40
	v_alignbit_b32 v35, v36, v30, v34
	v_alignbit_b32 v28, v30, v28, v34
	v_alignbit_b32 v29, v35, v28, 9
	v_ffbh_u32_e32 v30, v29
	v_min_u32_e32 v30, 32, v30
	v_lshrrev_b32_e32 v38, 29, v2
	v_not_b32_e32 v34, v30
	v_alignbit_b32 v28, v29, v28, v34
	v_lshlrev_b32_e32 v29, 31, v38
	v_or_b32_e32 v34, 0x33000000, v29
	v_add_lshl_u32 v30, v30, v31, 23
	v_lshrrev_b32_e32 v28, 9, v28
	v_sub_u32_e32 v30, v34, v30
	v_or_b32_e32 v29, 0.5, v29
	v_lshlrev_b32_e32 v31, 23, v31
	v_or_b32_e32 v28, v30, v28
	v_lshrrev_b32_e32 v30, 9, v35
	v_sub_u32_e32 v29, v29, v31
	v_or_b32_e32 v29, v30, v29
	v_mul_f32_e32 v30, 0x3fc90fda, v29
	v_fma_f32 v31, v29, s27, -v30
	v_fmac_f32_e32 v31, 0x33a22168, v29
	v_fmac_f32_e32 v31, 0x3fc90fda, v28
	v_lshrrev_b32_e32 v2, 30, v2
	v_add_f32_e32 v31, v30, v31
	v_add_u32_e32 v30, v39, v2
.LBB1_19:                               ;   in Loop: Header=BB1_1 Depth=1
	s_or_saveexec_b64 s[4:5], s[16:17]
	v_mul_f32_e64 v2, |v23|, s28
	v_rndne_f32_e32 v2, v2
	s_xor_b64 exec, exec, s[4:5]
; %bb.20:                               ;   in Loop: Header=BB1_1 Depth=1
	v_cvt_i32_f32_e32 v30, v2
	v_fma_f32 v31, v2, s30, |v23|
	v_fmac_f32_e32 v31, 0xb3a22168, v2
	v_fmac_f32_e32 v31, 0xa7c234c4, v2
; %bb.21:                               ;   in Loop: Header=BB1_1 Depth=1
	s_or_b64 exec, exec, s[4:5]
                                        ; implicit-def: $vgpr28
                                        ; implicit-def: $vgpr29
	s_and_saveexec_b64 s[4:5], s[14:15]
	s_xor_b64 s[14:15], exec, s[4:5]
	s_cbranch_execz .LBB1_23
; %bb.22:                               ;   in Loop: Header=BB1_1 Depth=1
	v_cmp_lt_u32_e32 vcc, 63, v33
	s_nop 1
	v_cndmask_b32_e32 v2, 0, v8, vcc
	v_add_u32_e32 v2, v2, v33
	v_cmp_lt_u32_e64 s[4:5], 31, v2
	s_nop 1
	v_cndmask_b32_e64 v28, 0, v9, s[4:5]
	v_add_u32_e32 v2, v28, v2
	v_cmp_lt_u32_e64 s[6:7], 31, v2
	s_nop 1
	v_cndmask_b32_e64 v28, 0, v9, s[6:7]
	v_add_u32_e32 v44, v28, v2
	v_mad_u64_u32 v[28:29], s[8:9], v32, s20, 0
	v_mov_b32_e32 v2, v29
	v_mad_u64_u32 v[34:35], s[8:9], v32, s21, v[2:3]
	v_mov_b32_e32 v2, v35
	;; [unrolled: 2-line block ×6, first 2 shown]
	v_mad_u64_u32 v[32:33], s[8:9], v32, s26, v[2:3]
	v_cndmask_b32_e32 v29, v42, v38, vcc
	v_cndmask_b32_e32 v2, v32, v40, vcc
	;; [unrolled: 1-line block ×3, first 2 shown]
	v_cndmask_b32_e64 v32, v2, v29, s[4:5]
	v_cndmask_b32_e64 v2, v33, v2, s[4:5]
	v_cndmask_b32_e32 v33, v40, v36, vcc
	v_cndmask_b32_e64 v29, v29, v33, s[4:5]
	v_cndmask_b32_e32 v34, v38, v34, vcc
	v_cndmask_b32_e64 v2, v2, v32, s[6:7]
	v_cndmask_b32_e64 v32, v32, v29, s[6:7]
	v_sub_u32_e32 v35, 32, v44
	v_cndmask_b32_e64 v33, v33, v34, s[4:5]
	v_alignbit_b32 v37, v2, v32, v35
	v_cmp_eq_u32_e64 s[8:9], 0, v44
	v_cndmask_b32_e64 v29, v29, v33, s[6:7]
	v_cndmask_b32_e32 v28, v36, v28, vcc
	v_cndmask_b32_e64 v2, v37, v2, s[8:9]
	v_alignbit_b32 v37, v32, v29, v35
	v_cndmask_b32_e64 v32, v37, v32, s[8:9]
	v_bfe_u32 v39, v2, 29, 1
	v_cndmask_b32_e64 v28, v34, v28, s[4:5]
	v_alignbit_b32 v37, v2, v32, 30
	v_sub_u32_e32 v40, 0, v39
	v_cndmask_b32_e64 v28, v33, v28, s[6:7]
	v_xor_b32_e32 v37, v37, v40
	v_alignbit_b32 v33, v29, v28, v35
	v_cndmask_b32_e64 v29, v33, v29, s[8:9]
	v_ffbh_u32_e32 v33, v37
	v_alignbit_b32 v32, v32, v29, 30
	v_min_u32_e32 v33, 32, v33
	v_alignbit_b32 v28, v29, v28, 30
	v_xor_b32_e32 v32, v32, v40
	v_sub_u32_e32 v34, 31, v33
	v_xor_b32_e32 v28, v28, v40
	v_alignbit_b32 v35, v37, v32, v34
	v_alignbit_b32 v28, v32, v28, v34
	;; [unrolled: 1-line block ×3, first 2 shown]
	v_ffbh_u32_e32 v32, v29
	v_min_u32_e32 v32, 32, v32
	v_lshrrev_b32_e32 v38, 29, v2
	v_not_b32_e32 v34, v32
	v_alignbit_b32 v28, v29, v28, v34
	v_lshlrev_b32_e32 v29, 31, v38
	v_or_b32_e32 v34, 0x33000000, v29
	v_add_lshl_u32 v32, v32, v33, 23
	v_lshrrev_b32_e32 v28, 9, v28
	v_sub_u32_e32 v32, v34, v32
	v_or_b32_e32 v29, 0.5, v29
	v_lshlrev_b32_e32 v33, 23, v33
	v_or_b32_e32 v28, v32, v28
	v_lshrrev_b32_e32 v32, 9, v35
	v_sub_u32_e32 v29, v29, v33
	v_or_b32_e32 v29, v32, v29
	v_mul_f32_e32 v32, 0x3fc90fda, v29
	v_fma_f32 v33, v29, s27, -v32
	v_fmac_f32_e32 v33, 0x33a22168, v29
	v_fmac_f32_e32 v33, 0x3fc90fda, v28
	v_lshrrev_b32_e32 v2, 30, v2
	v_add_f32_e32 v29, v32, v33
	v_add_u32_e32 v28, v39, v2
                                        ; implicit-def: $vgpr2
	s_andn2_saveexec_b64 s[4:5], s[14:15]
	s_cbranch_execnz .LBB1_24
	s_branch .LBB1_25
.LBB1_23:                               ;   in Loop: Header=BB1_1 Depth=1
	s_andn2_saveexec_b64 s[4:5], s[14:15]
.LBB1_24:                               ;   in Loop: Header=BB1_1 Depth=1
	v_cvt_i32_f32_e32 v28, v2
	v_fma_f32 v29, v2, s30, |v23|
	v_fmac_f32_e32 v29, 0xb3a22168, v2
	v_fmac_f32_e32 v29, 0xa7c234c4, v2
.LBB1_25:                               ;   in Loop: Header=BB1_1 Depth=1
	s_or_b64 exec, exec, s[4:5]
	v_mul_f32_e32 v2, v31, v31
	v_fmamk_f32 v32, v2, 0xb94c1982, v6
	v_fmaak_f32 v32, v2, v32, 0xbe2aaa9d
	v_mul_f32_e32 v32, v2, v32
	v_fmac_f32_e32 v31, v31, v32
	v_fmamk_f32 v32, v2, 0x37d75334, v7
	v_fmaak_f32 v32, v2, v32, 0x3d2aabf7
	v_fmaak_f32 v32, v2, v32, 0xbf000004
	v_fma_f32 v2, v2, v32, 1.0
	v_and_b32_e32 v32, 1, v30
	v_lshlrev_b32_e32 v30, 30, v30
	v_cmp_eq_u32_e32 vcc, 0, v32
	v_and_b32_e32 v30, 0x80000000, v30
	v_xor_b32_e32 v25, v25, v23
	v_cndmask_b32_e32 v2, v2, v31, vcc
	v_xor_b32_e32 v25, v25, v30
	v_cmp_class_f32_e64 vcc, v23, s34
	v_mul_f32_e32 v23, v22, v22
	v_xor_b32_e32 v2, v25, v2
	v_fmamk_f32 v25, v23, 0xb94c1982, v6
	v_fmaak_f32 v25, v23, v25, 0xbe2aaa9d
	v_mul_f32_e32 v25, v23, v25
	v_fmac_f32_e32 v22, v22, v25
	v_fmamk_f32 v25, v23, 0x37d75334, v7
	v_fmaak_f32 v25, v23, v25, 0x3d2aabf7
	v_fmaak_f32 v25, v23, v25, 0xbf000004
	v_fma_f32 v23, v23, v25, 1.0
	v_and_b32_e32 v25, 1, v21
	v_cmp_eq_u32_e64 s[4:5], 0, v25
	v_lshlrev_b32_e32 v21, 30, v21
	v_lshlrev_b64 v[4:5], 2, v[4:5]
	v_cndmask_b32_e64 v22, -v22, v23, s[4:5]
	v_bitop3_b32 v25, v21, v22, s33 bitop3:0x6c
	v_cmp_class_f32_e64 s[4:5], v17, s34
	v_lshl_add_u64 v[22:23], s[46:47], 0, v[4:5]
	global_load_dword v21, v[22:23], off
	v_cndmask_b32_e64 v30, v10, v25, s[4:5]
	v_mul_f32_e32 v25, v20, v20
	v_fmamk_f32 v22, v25, 0xb94c1982, v6
	v_fmaak_f32 v22, v25, v22, 0xbe2aaa9d
	v_mul_f32_e32 v22, v25, v22
	v_fmac_f32_e32 v20, v20, v22
	v_fmamk_f32 v31, v25, 0x37d75334, v7
	v_lshl_add_u64 v[22:23], s[48:49], 0, v[4:5]
	v_lshl_add_u64 v[4:5], s[50:51], 0, v[4:5]
	global_load_dword v23, v[22:23], off
	v_fmaak_f32 v22, v25, v31, 0x3d2aabf7
	global_load_dword v31, v[4:5], off
	v_fmaak_f32 v22, v25, v22, 0xbf000004
	v_and_b32_e32 v4, 1, v19
	v_lshlrev_b32_e32 v5, 30, v19
	v_fma_f32 v22, v25, v22, 1.0
	v_cmp_eq_u32_e64 s[6:7], 0, v4
	v_and_b32_e32 v5, 0x80000000, v5
	v_xor_b32_e32 v17, v18, v17
	v_cndmask_b32_e64 v4, v22, v20, s[6:7]
	v_xor_b32_e32 v5, v17, v5
	v_xor_b32_e32 v4, v5, v4
	v_mul_f32_e32 v5, v16, v16
	v_fmamk_f32 v17, v5, 0xb94c1982, v6
	v_fmaak_f32 v17, v5, v17, 0xbe2aaa9d
	v_mul_f32_e32 v17, v5, v17
	v_fmac_f32_e32 v16, v16, v17
	v_fmamk_f32 v17, v5, 0x37d75334, v7
	v_fmaak_f32 v17, v5, v17, 0x3d2aabf7
	v_fmaak_f32 v17, v5, v17, 0xbf000004
	v_fma_f32 v5, v5, v17, 1.0
	v_and_b32_e32 v17, 1, v15
	v_cndmask_b32_e64 v4, v10, v4, s[4:5]
	v_cmp_eq_u32_e64 s[4:5], 0, v17
	v_lshlrev_b32_e32 v15, 30, v15
	v_cndmask_b32_e32 v2, v10, v2, vcc
	v_cndmask_b32_e64 v5, -v16, v5, s[4:5]
	v_bitop3_b32 v5, v15, v5, s33 bitop3:0x6c
	v_cmp_class_f32_e64 s[4:5], v11, s34
	v_xor_b32_e32 v11, v12, v11
	s_xor_b64 s[8:9], s[12:13], -1
	v_cndmask_b32_e64 v15, v10, v5, s[4:5]
	v_mul_f32_e32 v5, v14, v14
	v_fmamk_f32 v16, v5, 0xb94c1982, v6
	v_fmaak_f32 v16, v5, v16, 0xbe2aaa9d
	v_mul_f32_e32 v16, v5, v16
	v_fmac_f32_e32 v14, v14, v16
	v_fmamk_f32 v16, v5, 0x37d75334, v7
	v_fmaak_f32 v16, v5, v16, 0x3d2aabf7
	v_fmaak_f32 v16, v5, v16, 0xbf000004
	v_fma_f32 v5, v5, v16, 1.0
	v_and_b32_e32 v16, 1, v13
	v_lshlrev_b32_e32 v13, 30, v13
	v_cmp_eq_u32_e64 s[6:7], 0, v16
	v_and_b32_e32 v13, 0x80000000, v13
	v_xor_b32_e32 v11, v11, v13
	v_cndmask_b32_e64 v5, v5, v14, s[6:7]
	v_xor_b32_e32 v5, v11, v5
	v_cndmask_b32_e64 v14, v10, v5, s[4:5]
	v_mul_f32_e32 v5, v29, v29
	v_fmamk_f32 v11, v5, 0xb94c1982, v6
	v_fmaak_f32 v11, v5, v11, 0xbe2aaa9d
	v_mul_f32_e32 v11, v5, v11
	v_fmac_f32_e32 v29, v29, v11
	v_fmamk_f32 v11, v5, 0x37d75334, v7
	v_fmaak_f32 v11, v5, v11, 0x3d2aabf7
	v_fmaak_f32 v11, v5, v11, 0xbf000004
	v_fma_f32 v5, v5, v11, 1.0
	v_and_b32_e32 v11, 1, v28
	v_cmp_eq_u32_e64 s[4:5], 0, v11
	v_lshlrev_b32_e32 v11, 30, v28
	s_cmp_lg_u32 s35, 1
	v_cndmask_b32_e64 v5, -v29, v5, s[4:5]
	v_bitop3_b32 v5, v11, v5, s33 bitop3:0x6c
	v_cndmask_b32_e32 v12, v10, v5, vcc
	v_pk_mul_f32 v[16:17], v[14:15], v[4:5] op_sel_hi:[1,0]
	v_pk_mul_f32 v[28:29], v[14:15], v[2:3] op_sel_hi:[1,0]
	;; [unrolled: 1-line block ×3, first 2 shown]
	v_pk_fma_f32 v[34:35], v[16:17], v[12:13], v[28:29] op_sel:[0,0,1] op_sel_hi:[1,0,0]
	v_sub_f32_e32 v19, v32, v29
	v_mov_b32_e32 v28, v15
	v_mov_b32_e32 v29, v14
	v_mul_f32_e32 v18, v30, v12
	v_mov_b32_e32 v20, v35
	v_pk_mul_f32 v[12:13], v[28:29], v[12:13] op_sel_hi:[1,0]
	s_cselect_b64 vcc, -1, 0
	s_cmp_lg_u32 s35, 0
	s_waitcnt vmcnt(2)
	scratch_store_dwordx4 off, v[18:21], s31
	v_xor_b32_e32 v28, 0x80000000, v4
	v_cndmask_b32_e32 v27, 0, v27, vcc
	v_pk_mul_f32 v[18:19], v[16:17], v[2:3] op_sel_hi:[1,0]
	v_pk_fma_f32 v[16:17], v[16:17], v[2:3], v[12:13] op_sel_hi:[1,0,1] neg_lo:[0,0,1] neg_hi:[0,0,1]
	s_waitcnt vmcnt(1)
	v_pk_mul_f32 v[4:5], v[14:15], v[30:31] op_sel_hi:[1,0]
	s_cselect_b64 vcc, -1, 0
	v_mul_f32_e32 v20, v30, v2
	v_add_f32_e32 v21, v18, v12
	v_mov_b32_e32 v22, v17
	v_mov_b32_e32 v29, v4
	;; [unrolled: 1-line block ×3, first 2 shown]
	v_cndmask_b32_e32 v26, 0, v26, vcc
	s_andn2_b64 vcc, exec, s[8:9]
	s_mov_b64 s[12:13], 0
	scratch_store_dwordx4 off, v[20:23], s31 offset:16
	scratch_store_dwordx4 off, v[28:31], s31 offset:32
	s_cbranch_vccz .LBB1_27
; %bb.26:                               ;   in Loop: Header=BB1_1 Depth=1
	s_mov_b32 s31, s18
	s_mov_b32 s35, 1
	s_branch .LBB1_1
.LBB1_27:
	scratch_load_dwordx4 v[0:3], off, off offset:48
	scratch_load_dwordx4 v[4:7], off, off offset:80
	scratch_load_dwordx4 v[8:11], off, off
	scratch_load_dwordx4 v[12:15], off, off offset:32
	scratch_load_dwordx4 v[16:19], off, off offset:16
	;; [unrolled: 1-line block ×3, first 2 shown]
	s_load_dwordx2 s[4:5], s[0:1], 0x0
	s_load_dwordx4 s[24:27], s[0:1], 0x48
	s_mov_b32 s23, 0
	v_mov_b32_e32 v25, 0
	s_movk_i32 s33, 0x46
	s_waitcnt lgkmcnt(0)
	s_max_i32 s42, s5, 1
	s_max_i32 s43, s4, 1
	s_add_u32 s30, s36, 8
	s_movk_i32 s40, 0x45
	s_mov_b32 s41, 0xf800000
	v_mov_b32_e32 v38, 0x260
	s_mov_b32 s28, 0x42340000
	v_mov_b32_e32 v39, 0x40b00000
	v_mov_b32_e32 v40, 0xff7fffff
	;; [unrolled: 1-line block ×4, first 2 shown]
	s_addc_u32 s31, s37, 0
	s_mov_b32 s22, s23
	s_waitcnt vmcnt(5)
	v_mov_b32_e32 v28, v3
	s_waitcnt vmcnt(4)
	v_mov_b32_e32 v29, v7
	v_mov_b32_e32 v30, v0
	;; [unrolled: 1-line block ×5, first 2 shown]
	s_waitcnt vmcnt(3)
	v_mov_b32_e32 v0, v11
	s_waitcnt vmcnt(2)
	v_mov_b32_e32 v1, v15
	v_mov_b32_e32 v32, v8
	;; [unrolled: 1-line block ×5, first 2 shown]
.LBB1_28:                               ; =>This Loop Header: Depth=1
                                        ;     Child Loop BB1_29 Depth 2
	s_lshl_b64 s[0:1], s[22:23], 4
	s_add_u32 s0, s38, s0
	s_addc_u32 s1, s39, s1
	global_load_dwordx4 v[34:37], v25, s[0:1]
	s_mov_b32 s36, s42
	s_mov_b64 s[34:35], s[30:31]
	s_waitcnt vmcnt(0)
	v_ashrrev_i32_e32 v7, 31, v37
	v_mov_b32_e32 v6, v37
	v_lshlrev_b64 v[6:7], 4, v[6:7]
	v_lshl_add_u64 v[6:7], s[26:27], 0, v[6:7]
	global_load_dwordx4 v[6:9], v[6:7], off
	v_fma_f32 v43, v34, v16, v19
	v_pk_fma_f32 v[14:15], v[34:35], v[32:33], v[0:1] op_sel_hi:[0,1,1]
	v_fma_f32 v44, v34, v20, v23
	v_pk_fma_f32 v[46:47], v[34:35], v[30:31], v[28:29] op_sel_hi:[0,1,1]
	v_fmac_f32_e32 v43, v35, v17
	v_pk_fma_f32 v[14:15], v[34:35], v[12:13], v[14:15] op_sel:[1,0,0]
	v_fmac_f32_e32 v44, v35, v21
	v_pk_fma_f32 v[34:35], v[34:35], v[4:5], v[46:47] op_sel:[1,0,0]
	v_fmac_f32_e32 v43, v36, v18
	v_pk_fma_f32 v[14:15], v[36:37], v[10:11], v[14:15] op_sel_hi:[0,1,1]
	v_fmac_f32_e32 v44, v36, v22
	v_pk_fma_f32 v[34:35], v[36:37], v[2:3], v[34:35] op_sel_hi:[0,1,1]
	s_waitcnt vmcnt(0)
	v_cmp_gt_f32_e64 s[8:9], 0, v8
	v_mov_b32_e32 v36, v9
	v_cmp_lt_f32_e64 s[0:1], 0, v8
	v_cmp_eq_u32_e64 s[4:5], s33, v6
	v_cmp_eq_u32_e64 s[6:7], s40, v6
	v_cndmask_b32_e64 v6, 1.0, v39, s[8:9]
	v_cndmask_b32_e64 v9, v40, 1.0, s[8:9]
.LBB1_29:                               ;   Parent Loop BB1_28 Depth=1
                                        ; =>  This Inner Loop Header: Depth=2
	global_load_dwordx4 v[46:49], v25, s[34:35] offset:-8
	s_waitcnt vmcnt(0)
	v_ashrrev_i32_e32 v51, 31, v49
	v_mov_b32_e32 v50, v49
	v_sub_f32_e32 v37, v43, v47
	v_mov_b32_e32 v52, v46
	v_mov_b32_e32 v53, v48
	v_sub_f32_e32 v45, v44, v47
	v_lshlrev_b64 v[46:47], 4, v[50:51]
	v_pk_add_f32 v[48:49], v[14:15], v[52:53] neg_lo:[0,1] neg_hi:[0,1]
	v_lshl_add_u64 v[46:47], s[26:27], 0, v[46:47]
	v_pk_add_f32 v[50:51], v[34:35], v[52:53] neg_lo:[0,1] neg_hi:[0,1]
	v_pk_mul_f32 v[52:53], v[48:49], v[48:49]
	global_load_dwordx4 v[46:49], v[46:47], off
	v_pk_mul_f32 v[50:51], v[50:51], v[50:51]
	v_fma_f32 v37, v37, v37, v52
	v_fma_f32 v45, v45, v45, v50
	v_add_f32_e32 v37, v37, v53
	v_add_f32_e32 v45, v45, v51
	v_mul_f32_e32 v50, 0x4f800000, v37
	v_cmp_gt_f32_e64 s[10:11], s41, v37
	v_mul_f32_e32 v51, 0x4f800000, v45
	v_cmp_gt_f32_e32 vcc, s41, v45
	v_cndmask_b32_e64 v37, v37, v50, s[10:11]
	v_sqrt_f32_e32 v50, v37
	v_cndmask_b32_e32 v45, v45, v51, vcc
	v_sqrt_f32_e32 v51, v45
	v_add_u32_e32 v52, -1, v50
	v_fma_f32 v56, -v52, v50, v37
	v_add_u32_e32 v54, -1, v51
	v_add_u32_e32 v53, 1, v50
	v_add_u32_e32 v55, 1, v51
	v_fma_f32 v58, -v54, v51, v45
	v_cmp_ge_f32_e64 s[12:13], 0, v56
	v_fma_f32 v57, -v53, v50, v37
	v_fma_f32 v59, -v55, v51, v45
	v_cndmask_b32_e64 v50, v50, v52, s[12:13]
	v_cmp_ge_f32_e64 s[12:13], 0, v58
	v_cmp_lt_f32_e64 s[14:15], 0, v57
	s_waitcnt vmcnt(0)
	v_cmp_gt_f32_e64 s[16:17], 0, v48
	v_cndmask_b32_e64 v51, v51, v54, s[12:13]
	v_cmp_lt_f32_e64 s[12:13], 0, v59
	v_cndmask_b32_e64 v50, v50, v53, s[14:15]
	v_mul_f32_e32 v52, 0x37800000, v50
	v_cndmask_b32_e64 v51, v51, v55, s[12:13]
	v_mul_f32_e32 v53, 0x37800000, v51
	v_cndmask_b32_e32 v51, v51, v53, vcc
	v_cmp_class_f32_e32 vcc, v45, v38
	v_cndmask_b32_e64 v50, v50, v52, s[10:11]
	v_cmp_class_f32_e64 s[10:11], v37, v38
	v_cndmask_b32_e32 v51, v51, v45, vcc
	v_add_f32_e32 v52, v7, v47
	v_cmp_eq_u32_e32 vcc, s33, v46
	v_cndmask_b32_e64 v50, v50, v37, s[10:11]
	v_cndmask_b32_e64 v45, v9, v6, s[16:17]
	v_div_scale_f32 v53, s[18:19], v52, v52, 1.0
	s_and_b64 vcc, vcc, s[4:5]
	s_and_b64 s[16:17], s[16:17], s[0:1]
	v_cmp_eq_u32_e64 s[10:11], s40, v46
	v_cmp_lt_f32_e64 s[12:13], 0, v48
	v_cmp_neq_f32_e64 s[14:15], 0, v48
	v_mov_b32_e32 v46, v49
	v_cndmask_b32_e64 v37, 2.0, 4.0, vcc
	v_cndmask_b32_e64 v47, v48, -v48, s[16:17]
	v_pk_add_f32 v[48:49], v[50:51], v[52:53] op_sel_hi:[1,0] neg_lo:[0,1] neg_hi:[0,1]
	v_cndmask_b32_e32 v55, 0.5, v41, vcc
	v_cmp_lt_f32_e32 vcc, v48, v37
	s_and_b64 s[12:13], s[12:13], s[8:9]
	v_cndmask_b32_e64 v54, v8, -v8, s[12:13]
	v_cndmask_b32_e64 v65, 0, 1.0, vcc
	v_cmp_lt_f32_e32 vcc, v49, v37
	v_div_scale_f32 v61, s[12:13], v45, v45, 1.0
	v_rcp_f32_e32 v63, v53
	v_cndmask_b32_e64 v37, 0, 1.0, vcc
	v_cmp_lt_f32_e32 vcc, v49, v45
	v_cmp_lt_f32_e64 s[20:21], v48, v45
	v_rcp_f32_e32 v64, v61
	s_and_b64 s[44:45], s[14:15], vcc
	s_and_b64 s[14:15], s[14:15], s[20:21]
	v_add_f32_e32 v54, v47, v54
	v_cmp_gt_f32_e64 s[16:17], 0, v49
	v_fma_f32 v47, -v55, v48, 1.0
	v_fma_f32 v55, -v55, v49, 1.0
	v_cndmask_b32_e64 v58, 0, 1.0, s[14:15]
	v_cmp_gt_f32_e64 s[14:15], 0, v48
	v_cndmask_b32_e64 v59, 0, 1.0, s[44:45]
	v_div_scale_f32 v60, s[18:19], 1.0, v52, 1.0
	v_cndmask_b32_e64 v66, v47, 1.0, s[14:15]
	v_cndmask_b32_e64 v47, v55, 1.0, s[16:17]
	v_pk_mul_f32 v[46:47], v[36:37], v[46:47]
	v_fma_f32 v37, -v53, v63, 1.0
	v_pk_mul_f32 v[54:55], v[54:55], v[58:59] op_sel_hi:[0,1]
	v_mul_f32_e32 v58, v65, v66
	v_fma_f32 v65, -v61, v64, 1.0
	v_fmac_f32_e32 v63, v37, v63
	v_div_scale_f32 v62, s[12:13], 1.0, v45, 1.0
	v_mov_b32_e32 v59, v47
	v_fmac_f32_e32 v64, v65, v64
	v_mul_f32_e32 v37, v60, v63
	v_pk_mul_f32 v[46:47], v[46:47], v[58:59] op_sel_hi:[0,1]
	v_mul_f32_e32 v58, v62, v64
	v_fma_f32 v59, -v53, v37, v60
	v_fma_f32 v65, -v61, v58, v62
	v_fmac_f32_e32 v37, v59, v63
	v_fmac_f32_e32 v58, v65, v64
	v_fma_f32 v53, -v53, v37, v60
	s_mov_b64 vcc, s[18:19]
	v_fma_f32 v59, -v61, v58, v62
	v_div_fmas_f32 v37, v53, v63, v37
	s_mov_b64 vcc, s[12:13]
	v_div_fixup_f32 v52, v37, v52, 1.0
	v_div_fmas_f32 v37, v59, v64, v58
	v_cndmask_b32_e64 v57, 0, v42, s[16:17]
	v_cndmask_b32_e64 v56, 0, v42, s[14:15]
	s_or_b64 s[10:11], s[10:11], s[6:7]
	v_div_fixup_f32 v58, v37, v45, 1.0
	v_pk_fma_f32 v[50:51], v[52:53], v[50:51], 1.0 op_sel_hi:[0,1,0] neg_lo:[1,0,0] neg_hi:[1,0,0]
	v_cndmask_b32_e64 v47, v47, -|v47|, s[10:11]
	v_cndmask_b32_e64 v46, v46, -|v46|, s[10:11]
	s_add_u32 s34, s34, 16
	v_pk_fma_f32 v[26:27], v[50:51], v[56:57], v[26:27]
	v_pk_fma_f32 v[48:49], v[58:59], v[48:49], 1.0 op_sel_hi:[0,1,0] neg_lo:[1,0,0] neg_hi:[1,0,0]
	s_addc_u32 s35, s35, 0
	s_add_i32 s36, s36, -1
	v_pk_fma_f32 v[26:27], v[46:47], s[28:29], v[26:27] op_sel_hi:[1,0,1]
	v_cndmask_b32_e64 v47, v49, 1.0, s[16:17]
	v_cndmask_b32_e64 v46, v48, 1.0, s[14:15]
	s_cmp_lg_u32 s36, 0
	v_pk_fma_f32 v[26:27], v[46:47], v[54:55], v[26:27]
	s_cbranch_scc1 .LBB1_29
; %bb.30:                               ;   in Loop: Header=BB1_28 Depth=1
	s_add_i32 s22, s22, 1
	s_cmp_lg_u32 s22, s43
	s_cbranch_scc1 .LBB1_28
; %bb.31:
	s_and_saveexec_b64 s[0:1], s[2:3]
	s_cbranch_execz .LBB1_33
; %bb.32:
	v_mov_b32_e32 v25, 0
	v_mul_f32_e32 v2, 0.5, v26
	v_lshl_add_u64 v[0:1], v[24:25], 2, s[24:25]
	v_add_u32_e32 v24, s29, v24
	global_store_dword v[0:1], v2, off
	v_mul_f32_e32 v2, 0.5, v27
	v_lshl_add_u64 v[0:1], v[24:25], 2, s[24:25]
	global_store_dword v[0:1], v2, off
.LBB1_33:
	s_endpgm
	.section	.rodata,"a",@progbits
	.p2align	6, 0x0
	.amdhsa_kernel _ZL11fasten_mainILm2EEviiPK4AtomS2_PKfS4_S4_S4_S4_S4_PfPK8FFParamsi
		.amdhsa_group_segment_fixed_size 0
		.amdhsa_private_segment_fixed_size 112
		.amdhsa_kernarg_size 352
		.amdhsa_user_sgpr_count 2
		.amdhsa_user_sgpr_dispatch_ptr 0
		.amdhsa_user_sgpr_queue_ptr 0
		.amdhsa_user_sgpr_kernarg_segment_ptr 1
		.amdhsa_user_sgpr_dispatch_id 0
		.amdhsa_user_sgpr_kernarg_preload_length 0
		.amdhsa_user_sgpr_kernarg_preload_offset 0
		.amdhsa_user_sgpr_private_segment_size 0
		.amdhsa_uses_dynamic_stack 0
		.amdhsa_enable_private_segment 1
		.amdhsa_system_sgpr_workgroup_id_x 1
		.amdhsa_system_sgpr_workgroup_id_y 0
		.amdhsa_system_sgpr_workgroup_id_z 0
		.amdhsa_system_sgpr_workgroup_info 0
		.amdhsa_system_vgpr_workitem_id 0
		.amdhsa_next_free_vgpr 67
		.amdhsa_next_free_sgpr 52
		.amdhsa_accum_offset 68
		.amdhsa_reserve_vcc 1
		.amdhsa_float_round_mode_32 0
		.amdhsa_float_round_mode_16_64 0
		.amdhsa_float_denorm_mode_32 3
		.amdhsa_float_denorm_mode_16_64 3
		.amdhsa_dx10_clamp 1
		.amdhsa_ieee_mode 1
		.amdhsa_fp16_overflow 0
		.amdhsa_tg_split 0
		.amdhsa_exception_fp_ieee_invalid_op 0
		.amdhsa_exception_fp_denorm_src 0
		.amdhsa_exception_fp_ieee_div_zero 0
		.amdhsa_exception_fp_ieee_overflow 0
		.amdhsa_exception_fp_ieee_underflow 0
		.amdhsa_exception_fp_ieee_inexact 0
		.amdhsa_exception_int_div_zero 0
	.end_amdhsa_kernel
	.section	.text._ZL11fasten_mainILm2EEviiPK4AtomS2_PKfS4_S4_S4_S4_S4_PfPK8FFParamsi,"axG",@progbits,_ZL11fasten_mainILm2EEviiPK4AtomS2_PKfS4_S4_S4_S4_S4_PfPK8FFParamsi,comdat
.Lfunc_end1:
	.size	_ZL11fasten_mainILm2EEviiPK4AtomS2_PKfS4_S4_S4_S4_S4_PfPK8FFParamsi, .Lfunc_end1-_ZL11fasten_mainILm2EEviiPK4AtomS2_PKfS4_S4_S4_S4_S4_PfPK8FFParamsi
                                        ; -- End function
	.set _ZL11fasten_mainILm2EEviiPK4AtomS2_PKfS4_S4_S4_S4_S4_PfPK8FFParamsi.num_vgpr, 67
	.set _ZL11fasten_mainILm2EEviiPK4AtomS2_PKfS4_S4_S4_S4_S4_PfPK8FFParamsi.num_agpr, 0
	.set _ZL11fasten_mainILm2EEviiPK4AtomS2_PKfS4_S4_S4_S4_S4_PfPK8FFParamsi.numbered_sgpr, 52
	.set _ZL11fasten_mainILm2EEviiPK4AtomS2_PKfS4_S4_S4_S4_S4_PfPK8FFParamsi.num_named_barrier, 0
	.set _ZL11fasten_mainILm2EEviiPK4AtomS2_PKfS4_S4_S4_S4_S4_PfPK8FFParamsi.private_seg_size, 112
	.set _ZL11fasten_mainILm2EEviiPK4AtomS2_PKfS4_S4_S4_S4_S4_PfPK8FFParamsi.uses_vcc, 1
	.set _ZL11fasten_mainILm2EEviiPK4AtomS2_PKfS4_S4_S4_S4_S4_PfPK8FFParamsi.uses_flat_scratch, 0
	.set _ZL11fasten_mainILm2EEviiPK4AtomS2_PKfS4_S4_S4_S4_S4_PfPK8FFParamsi.has_dyn_sized_stack, 0
	.set _ZL11fasten_mainILm2EEviiPK4AtomS2_PKfS4_S4_S4_S4_S4_PfPK8FFParamsi.has_recursion, 0
	.set _ZL11fasten_mainILm2EEviiPK4AtomS2_PKfS4_S4_S4_S4_S4_PfPK8FFParamsi.has_indirect_call, 0
	.section	.AMDGPU.csdata,"",@progbits
; Kernel info:
; codeLenInByte = 6064
; TotalNumSgprs: 58
; NumVgprs: 67
; NumAgprs: 0
; TotalNumVgprs: 67
; ScratchSize: 112
; MemoryBound: 0
; FloatMode: 240
; IeeeMode: 1
; LDSByteSize: 0 bytes/workgroup (compile time only)
; SGPRBlocks: 7
; VGPRBlocks: 8
; NumSGPRsForWavesPerEU: 58
; NumVGPRsForWavesPerEU: 67
; AccumOffset: 68
; Occupancy: 7
; WaveLimiterHint : 1
; COMPUTE_PGM_RSRC2:SCRATCH_EN: 1
; COMPUTE_PGM_RSRC2:USER_SGPR: 2
; COMPUTE_PGM_RSRC2:TRAP_HANDLER: 0
; COMPUTE_PGM_RSRC2:TGID_X_EN: 1
; COMPUTE_PGM_RSRC2:TGID_Y_EN: 0
; COMPUTE_PGM_RSRC2:TGID_Z_EN: 0
; COMPUTE_PGM_RSRC2:TIDIG_COMP_CNT: 0
; COMPUTE_PGM_RSRC3_GFX90A:ACCUM_OFFSET: 16
; COMPUTE_PGM_RSRC3_GFX90A:TG_SPLIT: 0
	.section	.text._ZL11fasten_mainILm4EEviiPK4AtomS2_PKfS4_S4_S4_S4_S4_PfPK8FFParamsi,"axG",@progbits,_ZL11fasten_mainILm4EEviiPK4AtomS2_PKfS4_S4_S4_S4_S4_PfPK8FFParamsi,comdat
	.globl	_ZL11fasten_mainILm4EEviiPK4AtomS2_PKfS4_S4_S4_S4_S4_PfPK8FFParamsi ; -- Begin function _ZL11fasten_mainILm4EEviiPK4AtomS2_PKfS4_S4_S4_S4_S4_PfPK8FFParamsi
	.p2align	8
	.type	_ZL11fasten_mainILm4EEviiPK4AtomS2_PKfS4_S4_S4_S4_S4_PfPK8FFParamsi,@function
_ZL11fasten_mainILm4EEviiPK4AtomS2_PKfS4_S4_S4_S4_S4_PfPK8FFParamsi: ; @_ZL11fasten_mainILm4EEviiPK4AtomS2_PKfS4_S4_S4_S4_S4_PfPK8FFParamsi
; %bb.0:
	s_load_dword s3, s[0:1], 0x6c
	s_load_dword s4, s[0:1], 0x58
	s_load_dwordx16 s[40:55], s[0:1], 0x8
	s_mov_b32 s11, 0
	s_mov_b32 s16, 0
	s_waitcnt lgkmcnt(0)
	s_and_b32 s33, s3, 0xffff
	s_mul_i32 s2, s2, s33
	v_lshl_add_u32 v52, s2, 2, v0
	s_add_i32 s2, s4, -4
	v_mov_b32_e32 v0, s2
	v_cmp_gt_i32_e64 s[2:3], s4, v52
	s_lshl_b32 s10, s33, 2
	s_brev_b32 s17, 18
	v_cndmask_b32_e64 v0, v0, v52, s[2:3]
	v_ashrrev_i32_e32 v1, 31, v0
	v_lshlrev_b64 v[0:1], 2, v[0:1]
	s_mov_b32 s18, 0xfe5163ab
	v_mov_b32_e32 v3, 0
	s_mov_b32 s19, 0x3c439041
	s_mov_b32 s20, 0xdb629599
	;; [unrolled: 1-line block ×9, first 2 shown]
	v_mov_b32_e32 v5, 0x3c0881c4
	v_mov_b32_e32 v6, 0xbab64f3b
	s_brev_b32 s28, 1
	s_movk_i32 s29, 0x1f8
	v_not_b32_e32 v7, 63
	v_not_b32_e32 v8, 31
	v_mov_b32_e32 v9, 0x7fc00000
	s_mov_b32 s30, s11
                                        ; implicit-def: $vgpr2
                                        ; implicit-def: $vgpr2
	;; [unrolled: 1-line block ×3, first 2 shown]
	s_branch .LBB2_2
.LBB2_1:                                ;   in Loop: Header=BB2_2 Depth=1
	s_or_b64 exec, exec, s[4:5]
	v_mul_f32_e32 v2, v26, v26
	v_fmamk_f32 v27, v2, 0xb94c1982, v5
	v_fmaak_f32 v27, v2, v27, 0xbe2aaa9d
	v_mul_f32_e32 v27, v2, v27
	v_fmac_f32_e32 v26, v26, v27
	v_fmamk_f32 v27, v2, 0x37d75334, v6
	v_fmaak_f32 v27, v2, v27, 0x3d2aabf7
	v_fmaak_f32 v27, v2, v27, 0xbf000004
	v_fma_f32 v2, v2, v27, 1.0
	v_and_b32_e32 v27, 1, v25
	v_lshlrev_b32_e32 v25, 30, v25
	v_cmp_eq_u32_e32 vcc, 0, v27
	v_and_b32_e32 v25, 0x80000000, v25
	v_xor_b32_e32 v22, v22, v21
	v_cndmask_b32_e32 v2, v2, v26, vcc
	v_xor_b32_e32 v22, v22, v25
	v_cmp_class_f32_e64 vcc, v21, s29
	v_mul_f32_e32 v21, v20, v20
	v_xor_b32_e32 v2, v22, v2
	v_fmamk_f32 v22, v21, 0xb94c1982, v5
	v_fmaak_f32 v22, v21, v22, 0xbe2aaa9d
	v_mul_f32_e32 v22, v21, v22
	v_fmac_f32_e32 v20, v20, v22
	v_fmamk_f32 v22, v21, 0x37d75334, v6
	v_fmaak_f32 v22, v21, v22, 0x3d2aabf7
	v_fmaak_f32 v22, v21, v22, 0xbf000004
	v_fma_f32 v21, v21, v22, 1.0
	v_and_b32_e32 v22, 1, v4
	v_cmp_eq_u32_e64 s[4:5], 0, v22
	v_lshlrev_b32_e32 v4, 30, v4
	v_lshl_add_u64 v[26:27], s[52:53], 0, v[0:1]
	v_cndmask_b32_e64 v20, -v20, v21, s[4:5]
	v_bitop3_b32 v4, v4, v20, s28 bitop3:0x6c
	v_lshl_add_u64 v[20:21], s[50:51], 0, v[0:1]
	global_load_dword v21, v[20:21], off
	v_mul_f32_e32 v20, v19, v19
	global_load_dword v25, v[26:27], off
	v_lshl_add_u64 v[26:27], s[54:55], 0, v[0:1]
	global_load_dword v27, v[26:27], off
	v_fmamk_f32 v22, v20, 0xb94c1982, v5
	v_fmaak_f32 v22, v20, v22, 0xbe2aaa9d
	v_mul_f32_e32 v22, v20, v22
	v_fmac_f32_e32 v19, v19, v22
	v_fmamk_f32 v22, v20, 0x37d75334, v6
	v_fmaak_f32 v22, v20, v22, 0x3d2aabf7
	v_fmaak_f32 v22, v20, v22, 0xbf000004
	v_fma_f32 v20, v20, v22, 1.0
	v_and_b32_e32 v22, 1, v18
	v_lshlrev_b32_e32 v18, 30, v18
	v_cmp_class_f32_e64 s[4:5], v16, s29
	v_and_b32_e32 v18, 0x80000000, v18
	v_xor_b32_e32 v16, v17, v16
	v_mul_f32_e32 v17, v15, v15
	v_xor_b32_e32 v16, v16, v18
	v_fmamk_f32 v18, v17, 0xb94c1982, v5
	v_fmaak_f32 v18, v17, v18, 0xbe2aaa9d
	v_mul_f32_e32 v18, v17, v18
	v_fmac_f32_e32 v15, v15, v18
	v_fmamk_f32 v18, v17, 0x37d75334, v6
	v_cmp_eq_u32_e64 s[6:7], 0, v22
	v_fmaak_f32 v18, v17, v18, 0x3d2aabf7
	v_fmaak_f32 v18, v17, v18, 0xbf000004
	v_cndmask_b32_e64 v19, v20, v19, s[6:7]
	v_xor_b32_e32 v16, v16, v19
	v_fma_f32 v17, v17, v18, 1.0
	v_and_b32_e32 v18, 1, v14
	v_cndmask_b32_e64 v4, v9, v4, s[4:5]
	v_cndmask_b32_e64 v16, v9, v16, s[4:5]
	v_cmp_eq_u32_e64 s[4:5], 0, v18
	v_lshlrev_b32_e32 v14, 30, v14
	v_cndmask_b32_e32 v2, v9, v2, vcc
	v_cndmask_b32_e64 v15, -v15, v17, s[4:5]
	v_bitop3_b32 v14, v14, v15, s28 bitop3:0x6c
	v_cmp_class_f32_e64 s[4:5], v10, s29
	v_xor_b32_e32 v10, v11, v10
	v_lshl_add_u64 v[0:1], v[0:1], 0, s[10:11]
	v_cndmask_b32_e64 v15, v9, v14, s[4:5]
	v_mul_f32_e32 v14, v13, v13
	v_fmamk_f32 v17, v14, 0xb94c1982, v5
	v_fmaak_f32 v17, v14, v17, 0xbe2aaa9d
	v_mul_f32_e32 v17, v14, v17
	v_fmac_f32_e32 v13, v13, v17
	v_fmamk_f32 v17, v14, 0x37d75334, v6
	v_fmaak_f32 v17, v14, v17, 0x3d2aabf7
	v_fmaak_f32 v17, v14, v17, 0xbf000004
	v_fma_f32 v14, v14, v17, 1.0
	v_and_b32_e32 v17, 1, v12
	v_lshlrev_b32_e32 v12, 30, v12
	v_cmp_eq_u32_e64 s[6:7], 0, v17
	v_and_b32_e32 v12, 0x80000000, v12
	v_xor_b32_e32 v10, v10, v12
	v_cndmask_b32_e64 v13, v14, v13, s[6:7]
	v_xor_b32_e32 v10, v10, v13
	v_cndmask_b32_e64 v14, v9, v10, s[4:5]
	v_mul_f32_e32 v10, v24, v24
	v_fmamk_f32 v11, v10, 0xb94c1982, v5
	v_fmaak_f32 v11, v10, v11, 0xbe2aaa9d
	v_mul_f32_e32 v11, v10, v11
	v_fmac_f32_e32 v24, v24, v11
	v_fmamk_f32 v11, v10, 0x37d75334, v6
	v_fmaak_f32 v11, v10, v11, 0x3d2aabf7
	v_fmaak_f32 v11, v10, v11, 0xbf000004
	v_fma_f32 v10, v10, v11, 1.0
	v_and_b32_e32 v11, 1, v23
	v_cmp_eq_u32_e64 s[4:5], 0, v11
	v_lshlrev_b32_e32 v11, 30, v23
	v_pk_mul_f32 v[12:13], v[14:15], v[16:17] op_sel_hi:[1,0]
	v_cndmask_b32_e64 v10, -v24, v10, s[4:5]
	v_bitop3_b32 v10, v11, v10, s28 bitop3:0x6c
	v_cndmask_b32_e32 v10, v9, v10, vcc
	v_pk_mul_f32 v[22:23], v[14:15], v[2:3] op_sel_hi:[1,0]
	v_pk_mul_f32 v[28:29], v[12:13], v[10:11] op_sel_hi:[1,0]
	v_pk_fma_f32 v[30:31], v[12:13], v[10:11], v[22:23] op_sel:[0,0,1] op_sel_hi:[1,0,0]
	v_mul_f32_e32 v18, v4, v10
	s_add_i32 s4, s30, 16
	v_sub_f32_e32 v19, v28, v23
	v_mov_b32_e32 v20, v31
	s_waitcnt vmcnt(2)
	scratch_store_dwordx4 off, v[18:21], s4
	v_mul_f32_e32 v22, v4, v2
	s_add_i32 s5, s4, 16
	v_mov_b32_e32 v20, v15
	v_mov_b32_e32 v21, v14
	v_pk_mul_f32 v[10:11], v[20:21], v[10:11] op_sel_hi:[1,0]
	v_pk_mul_f32 v[18:19], v[12:13], v[2:3] op_sel_hi:[1,0]
	v_pk_fma_f32 v[12:13], v[12:13], v[2:3], v[10:11] op_sel_hi:[1,0,1] neg_lo:[0,0,1] neg_hi:[0,0,1]
	v_add_f32_e32 v23, v18, v10
	v_mov_b32_e32 v24, v13
	v_pk_mul_f32 v[10:11], v[14:15], v[4:5] op_sel_hi:[1,0]
	s_waitcnt vmcnt(2)
	scratch_store_dwordx4 off, v[22:25], s5
	s_add_i32 s4, s4, 32
	v_mov_b32_e32 v26, v11
	v_xor_b32_e32 v24, 0x80000000, v16
	v_mov_b32_e32 v25, v10
	s_waitcnt vmcnt(2)
	scratch_store_dwordx4 off, v[24:27], s4
	scratch_store_dword off, v3, s16
	s_add_i32 s30, s30, 48
	s_add_i32 s16, s16, 4
	s_cmpk_lg_i32 s30, 0xc0
	s_cbranch_scc0 .LBB2_26
.LBB2_2:                                ; =>This Inner Loop Header: Depth=1
	v_lshl_add_u64 v[10:11], s[44:45], 0, v[0:1]
	global_load_dword v10, v[10:11], off
                                        ; implicit-def: $vgpr12
                                        ; implicit-def: $vgpr13
	s_waitcnt vmcnt(0)
	v_and_b32_e32 v11, 0x7fffffff, v10
	v_lshrrev_b32_e32 v2, 23, v11
	v_and_b32_e32 v4, 0x7fffff, v11
	v_cmp_nlt_f32_e64 s[12:13], |v10|, s17
	v_add_u32_e32 v16, 0xffffff88, v2
	v_or_b32_e32 v4, 0x800000, v4
	s_and_saveexec_b64 s[4:5], s[12:13]
	s_xor_b64 s[14:15], exec, s[4:5]
	s_cbranch_execz .LBB2_4
; %bb.3:                                ;   in Loop: Header=BB2_2 Depth=1
	v_cmp_lt_u32_e32 vcc, 63, v16
	s_nop 1
	v_cndmask_b32_e32 v2, 0, v7, vcc
	v_add_u32_e32 v2, v2, v16
	v_cmp_lt_u32_e64 s[4:5], 31, v2
	s_nop 1
	v_cndmask_b32_e64 v12, 0, v8, s[4:5]
	v_add_u32_e32 v2, v12, v2
	v_cmp_lt_u32_e64 s[6:7], 31, v2
	s_nop 1
	v_cndmask_b32_e64 v12, 0, v8, s[6:7]
	v_add_u32_e32 v17, v12, v2
	v_mad_u64_u32 v[12:13], s[8:9], v4, s18, 0
	v_mov_b32_e32 v2, v13
	v_mad_u64_u32 v[14:15], s[8:9], v4, s19, v[2:3]
	v_mov_b32_e32 v2, v15
	;; [unrolled: 2-line block ×6, first 2 shown]
	v_mad_u64_u32 v[26:27], s[8:9], v4, s24, v[2:3]
	v_cndmask_b32_e32 v13, v24, v20, vcc
	v_cndmask_b32_e32 v2, v26, v22, vcc
	;; [unrolled: 1-line block ×3, first 2 shown]
	v_cndmask_b32_e64 v15, v2, v13, s[4:5]
	v_cndmask_b32_e64 v2, v19, v2, s[4:5]
	v_cndmask_b32_e32 v19, v22, v18, vcc
	v_cndmask_b32_e64 v13, v13, v19, s[4:5]
	v_cndmask_b32_e32 v14, v20, v14, vcc
	v_cndmask_b32_e64 v2, v2, v15, s[6:7]
	v_cndmask_b32_e64 v15, v15, v13, s[6:7]
	v_sub_u32_e32 v21, 32, v17
	v_cmp_eq_u32_e64 s[8:9], 0, v17
	v_cndmask_b32_e64 v17, v19, v14, s[4:5]
	v_alignbit_b32 v22, v2, v15, v21
	v_cndmask_b32_e64 v13, v13, v17, s[6:7]
	v_cndmask_b32_e32 v12, v18, v12, vcc
	v_cndmask_b32_e64 v2, v22, v2, s[8:9]
	v_alignbit_b32 v19, v15, v13, v21
	v_cndmask_b32_e64 v12, v14, v12, s[4:5]
	v_cndmask_b32_e64 v15, v19, v15, s[8:9]
	v_bfe_u32 v22, v2, 29, 1
	v_cndmask_b32_e64 v12, v17, v12, s[6:7]
	v_alignbit_b32 v19, v2, v15, 30
	v_sub_u32_e32 v23, 0, v22
	v_alignbit_b32 v14, v13, v12, v21
	v_xor_b32_e32 v19, v19, v23
	v_cndmask_b32_e64 v13, v14, v13, s[8:9]
	v_alignbit_b32 v14, v15, v13, 30
	v_ffbh_u32_e32 v15, v19
	v_min_u32_e32 v15, 32, v15
	v_alignbit_b32 v12, v13, v12, 30
	v_xor_b32_e32 v14, v14, v23
	v_sub_u32_e32 v17, 31, v15
	v_xor_b32_e32 v12, v12, v23
	v_alignbit_b32 v18, v19, v14, v17
	v_alignbit_b32 v12, v14, v12, v17
	;; [unrolled: 1-line block ×3, first 2 shown]
	v_ffbh_u32_e32 v14, v13
	v_min_u32_e32 v14, 32, v14
	v_lshrrev_b32_e32 v20, 29, v2
	v_not_b32_e32 v17, v14
	v_alignbit_b32 v12, v13, v12, v17
	v_lshlrev_b32_e32 v13, 31, v20
	v_or_b32_e32 v17, 0x33000000, v13
	v_add_lshl_u32 v14, v14, v15, 23
	v_lshrrev_b32_e32 v12, 9, v12
	v_sub_u32_e32 v14, v17, v14
	v_or_b32_e32 v13, 0.5, v13
	v_lshlrev_b32_e32 v15, 23, v15
	v_or_b32_e32 v12, v14, v12
	v_lshrrev_b32_e32 v14, 9, v18
	v_sub_u32_e32 v13, v13, v15
	v_or_b32_e32 v13, v14, v13
	v_mul_f32_e32 v14, 0x3fc90fda, v13
	v_fma_f32 v15, v13, s25, -v14
	v_fmac_f32_e32 v15, 0x33a22168, v13
	v_fmac_f32_e32 v15, 0x3fc90fda, v12
	v_lshrrev_b32_e32 v2, 30, v2
	v_add_f32_e32 v13, v14, v15
	v_add_u32_e32 v12, v22, v2
.LBB2_4:                                ;   in Loop: Header=BB2_2 Depth=1
	s_or_saveexec_b64 s[4:5], s[14:15]
	v_mul_f32_e64 v2, |v10|, s26
	v_rndne_f32_e32 v2, v2
	s_xor_b64 exec, exec, s[4:5]
; %bb.5:                                ;   in Loop: Header=BB2_2 Depth=1
	v_cvt_i32_f32_e32 v12, v2
	v_fma_f32 v13, v2, s27, |v10|
	v_fmac_f32_e32 v13, 0xb3a22168, v2
	v_fmac_f32_e32 v13, 0xa7c234c4, v2
; %bb.6:                                ;   in Loop: Header=BB2_2 Depth=1
	s_or_b64 exec, exec, s[4:5]
                                        ; implicit-def: $vgpr14
                                        ; implicit-def: $vgpr15
	s_and_saveexec_b64 s[4:5], s[12:13]
	s_xor_b64 s[12:13], exec, s[4:5]
	s_cbranch_execz .LBB2_8
; %bb.7:                                ;   in Loop: Header=BB2_2 Depth=1
	v_cmp_lt_u32_e32 vcc, 63, v16
	s_nop 1
	v_cndmask_b32_e32 v2, 0, v7, vcc
	v_add_u32_e32 v2, v2, v16
	v_cmp_lt_u32_e64 s[4:5], 31, v2
	s_nop 1
	v_cndmask_b32_e64 v14, 0, v8, s[4:5]
	v_add_u32_e32 v2, v14, v2
	v_cmp_lt_u32_e64 s[6:7], 31, v2
	s_nop 1
	v_cndmask_b32_e64 v14, 0, v8, s[6:7]
	v_add_u32_e32 v28, v14, v2
	v_mad_u64_u32 v[14:15], s[8:9], v4, s18, 0
	v_mov_b32_e32 v2, v15
	v_mad_u64_u32 v[16:17], s[8:9], v4, s19, v[2:3]
	v_mov_b32_e32 v2, v17
	;; [unrolled: 2-line block ×6, first 2 shown]
	v_mad_u64_u32 v[26:27], s[8:9], v4, s24, v[2:3]
	v_cndmask_b32_e32 v15, v24, v20, vcc
	v_cndmask_b32_e32 v2, v26, v22, vcc
	v_cndmask_b32_e32 v17, v27, v24, vcc
	v_cndmask_b32_e64 v4, v2, v15, s[4:5]
	v_cndmask_b32_e64 v2, v17, v2, s[4:5]
	v_cndmask_b32_e32 v17, v22, v18, vcc
	v_cndmask_b32_e64 v15, v15, v17, s[4:5]
	v_cndmask_b32_e32 v16, v20, v16, vcc
	v_cndmask_b32_e64 v2, v2, v4, s[6:7]
	v_cndmask_b32_e64 v4, v4, v15, s[6:7]
	v_sub_u32_e32 v19, 32, v28
	v_cndmask_b32_e64 v17, v17, v16, s[4:5]
	v_alignbit_b32 v21, v2, v4, v19
	v_cmp_eq_u32_e64 s[8:9], 0, v28
	v_cndmask_b32_e64 v15, v15, v17, s[6:7]
	v_alignbit_b32 v20, v4, v15, v19
	v_cndmask_b32_e64 v2, v21, v2, s[8:9]
	v_cndmask_b32_e32 v14, v18, v14, vcc
	v_cndmask_b32_e64 v4, v20, v4, s[8:9]
	v_bfe_u32 v22, v2, 29, 1
	v_cndmask_b32_e64 v14, v16, v14, s[4:5]
	v_alignbit_b32 v20, v2, v4, 30
	v_sub_u32_e32 v23, 0, v22
	v_cndmask_b32_e64 v14, v17, v14, s[6:7]
	v_xor_b32_e32 v20, v20, v23
	v_alignbit_b32 v16, v15, v14, v19
	v_cndmask_b32_e64 v15, v16, v15, s[8:9]
	v_ffbh_u32_e32 v16, v20
	v_alignbit_b32 v4, v4, v15, 30
	v_min_u32_e32 v16, 32, v16
	v_alignbit_b32 v14, v15, v14, 30
	v_xor_b32_e32 v4, v4, v23
	v_sub_u32_e32 v17, 31, v16
	v_xor_b32_e32 v14, v14, v23
	v_alignbit_b32 v18, v20, v4, v17
	v_alignbit_b32 v4, v4, v14, v17
	;; [unrolled: 1-line block ×3, first 2 shown]
	v_ffbh_u32_e32 v15, v14
	v_min_u32_e32 v15, 32, v15
	v_lshrrev_b32_e32 v21, 29, v2
	v_not_b32_e32 v17, v15
	v_alignbit_b32 v4, v14, v4, v17
	v_lshlrev_b32_e32 v14, 31, v21
	v_or_b32_e32 v17, 0x33000000, v14
	v_add_lshl_u32 v15, v15, v16, 23
	v_lshrrev_b32_e32 v4, 9, v4
	v_sub_u32_e32 v15, v17, v15
	v_or_b32_e32 v14, 0.5, v14
	v_lshlrev_b32_e32 v16, 23, v16
	v_or_b32_e32 v4, v15, v4
	v_lshrrev_b32_e32 v15, 9, v18
	v_sub_u32_e32 v14, v14, v16
	v_or_b32_e32 v14, v15, v14
	v_mul_f32_e32 v15, 0x3fc90fda, v14
	v_fma_f32 v16, v14, s25, -v15
	v_fmac_f32_e32 v16, 0x33a22168, v14
	v_fmac_f32_e32 v16, 0x3fc90fda, v4
	v_lshrrev_b32_e32 v2, 30, v2
	v_add_f32_e32 v15, v15, v16
	v_add_u32_e32 v14, v22, v2
                                        ; implicit-def: $vgpr2
	s_andn2_saveexec_b64 s[4:5], s[12:13]
	s_cbranch_execnz .LBB2_9
	s_branch .LBB2_10
.LBB2_8:                                ;   in Loop: Header=BB2_2 Depth=1
	s_andn2_saveexec_b64 s[4:5], s[12:13]
.LBB2_9:                                ;   in Loop: Header=BB2_2 Depth=1
	v_cvt_i32_f32_e32 v14, v2
	v_fma_f32 v15, v2, s27, |v10|
	v_fmac_f32_e32 v15, 0xb3a22168, v2
	v_fmac_f32_e32 v15, 0xa7c234c4, v2
.LBB2_10:                               ;   in Loop: Header=BB2_2 Depth=1
	s_or_b64 exec, exec, s[4:5]
	v_lshl_add_u64 v[16:17], s[46:47], 0, v[0:1]
	global_load_dword v16, v[16:17], off
                                        ; implicit-def: $vgpr18
                                        ; implicit-def: $vgpr19
	s_waitcnt vmcnt(0)
	v_and_b32_e32 v17, 0x7fffffff, v16
	v_lshrrev_b32_e32 v2, 23, v17
	v_and_b32_e32 v4, 0x7fffff, v17
	v_cmp_nlt_f32_e64 s[12:13], |v16|, s17
	v_add_u32_e32 v22, 0xffffff88, v2
	v_or_b32_e32 v21, 0x800000, v4
	s_and_saveexec_b64 s[4:5], s[12:13]
	s_xor_b64 s[14:15], exec, s[4:5]
	s_cbranch_execz .LBB2_12
; %bb.11:                               ;   in Loop: Header=BB2_2 Depth=1
	v_cmp_lt_u32_e32 vcc, 63, v22
	v_mad_u64_u32 v[18:19], s[8:9], v21, s18, 0
	s_nop 0
	v_cndmask_b32_e32 v2, 0, v7, vcc
	v_add_u32_e32 v2, v2, v22
	v_cmp_lt_u32_e64 s[4:5], 31, v2
	s_nop 1
	v_cndmask_b32_e64 v4, 0, v8, s[4:5]
	v_add_u32_e32 v2, v4, v2
	v_cmp_lt_u32_e64 s[6:7], 31, v2
	s_nop 1
	v_cndmask_b32_e64 v4, 0, v8, s[6:7]
	v_add_u32_e32 v4, v4, v2
	v_mov_b32_e32 v2, v19
	v_mad_u64_u32 v[24:25], s[8:9], v21, s19, v[2:3]
	v_mov_b32_e32 v2, v25
	v_mad_u64_u32 v[26:27], s[8:9], v21, s20, v[2:3]
	v_mov_b32_e32 v2, v27
	v_mad_u64_u32 v[28:29], s[8:9], v21, s21, v[2:3]
	v_mov_b32_e32 v2, v29
	v_mad_u64_u32 v[30:31], s[8:9], v21, s22, v[2:3]
	v_mov_b32_e32 v2, v31
	v_mad_u64_u32 v[32:33], s[8:9], v21, s23, v[2:3]
	v_mov_b32_e32 v2, v33
	v_mad_u64_u32 v[34:35], s[8:9], v21, s24, v[2:3]
	v_cndmask_b32_e32 v19, v32, v28, vcc
	v_cndmask_b32_e32 v2, v34, v30, vcc
	v_cndmask_b32_e32 v23, v35, v32, vcc
	v_cndmask_b32_e64 v20, v2, v19, s[4:5]
	v_cndmask_b32_e64 v2, v23, v2, s[4:5]
	v_cndmask_b32_e32 v23, v30, v26, vcc
	v_cndmask_b32_e64 v19, v19, v23, s[4:5]
	v_sub_u32_e32 v25, 32, v4
	v_cmp_eq_u32_e64 s[8:9], 0, v4
	v_cndmask_b32_e32 v4, v28, v24, vcc
	v_cndmask_b32_e64 v2, v2, v20, s[6:7]
	v_cndmask_b32_e64 v20, v20, v19, s[6:7]
	;; [unrolled: 1-line block ×3, first 2 shown]
	v_alignbit_b32 v27, v2, v20, v25
	v_cndmask_b32_e64 v19, v19, v23, s[6:7]
	v_cndmask_b32_e32 v18, v26, v18, vcc
	v_cndmask_b32_e64 v2, v27, v2, s[8:9]
	v_alignbit_b32 v24, v20, v19, v25
	v_cndmask_b32_e64 v4, v4, v18, s[4:5]
	v_cndmask_b32_e64 v20, v24, v20, s[8:9]
	v_bfe_u32 v28, v2, 29, 1
	v_cndmask_b32_e64 v4, v23, v4, s[6:7]
	v_alignbit_b32 v24, v2, v20, 30
	v_sub_u32_e32 v29, 0, v28
	v_alignbit_b32 v18, v19, v4, v25
	v_xor_b32_e32 v24, v24, v29
	v_cndmask_b32_e64 v18, v18, v19, s[8:9]
	v_alignbit_b32 v19, v20, v18, 30
	v_ffbh_u32_e32 v20, v24
	v_min_u32_e32 v20, 32, v20
	v_alignbit_b32 v4, v18, v4, 30
	v_xor_b32_e32 v19, v19, v29
	v_sub_u32_e32 v23, 31, v20
	v_xor_b32_e32 v4, v4, v29
	v_alignbit_b32 v24, v24, v19, v23
	v_alignbit_b32 v4, v19, v4, v23
	;; [unrolled: 1-line block ×3, first 2 shown]
	v_ffbh_u32_e32 v19, v18
	v_min_u32_e32 v19, 32, v19
	v_lshrrev_b32_e32 v27, 29, v2
	v_not_b32_e32 v23, v19
	v_alignbit_b32 v4, v18, v4, v23
	v_lshlrev_b32_e32 v18, 31, v27
	v_or_b32_e32 v23, 0x33000000, v18
	v_add_lshl_u32 v19, v19, v20, 23
	v_lshrrev_b32_e32 v4, 9, v4
	v_sub_u32_e32 v19, v23, v19
	v_or_b32_e32 v18, 0.5, v18
	v_lshlrev_b32_e32 v20, 23, v20
	v_or_b32_e32 v4, v19, v4
	v_lshrrev_b32_e32 v19, 9, v24
	v_sub_u32_e32 v18, v18, v20
	v_or_b32_e32 v18, v19, v18
	v_mul_f32_e32 v19, 0x3fc90fda, v18
	v_fma_f32 v20, v18, s25, -v19
	v_fmac_f32_e32 v20, 0x33a22168, v18
	v_fmac_f32_e32 v20, 0x3fc90fda, v4
	v_lshrrev_b32_e32 v2, 30, v2
	v_add_f32_e32 v19, v19, v20
	v_add_u32_e32 v18, v28, v2
.LBB2_12:                               ;   in Loop: Header=BB2_2 Depth=1
	s_or_saveexec_b64 s[4:5], s[14:15]
	v_mul_f32_e64 v2, |v16|, s26
	v_rndne_f32_e32 v2, v2
	s_xor_b64 exec, exec, s[4:5]
; %bb.13:                               ;   in Loop: Header=BB2_2 Depth=1
	v_cvt_i32_f32_e32 v18, v2
	v_fma_f32 v19, v2, s27, |v16|
	v_fmac_f32_e32 v19, 0xb3a22168, v2
	v_fmac_f32_e32 v19, 0xa7c234c4, v2
; %bb.14:                               ;   in Loop: Header=BB2_2 Depth=1
	s_or_b64 exec, exec, s[4:5]
                                        ; implicit-def: $vgpr4
                                        ; implicit-def: $vgpr20
	s_and_saveexec_b64 s[4:5], s[12:13]
	s_xor_b64 s[12:13], exec, s[4:5]
	s_cbranch_execz .LBB2_16
; %bb.15:                               ;   in Loop: Header=BB2_2 Depth=1
	v_cmp_lt_u32_e32 vcc, 63, v22
	s_nop 1
	v_cndmask_b32_e32 v2, 0, v7, vcc
	v_add_u32_e32 v2, v2, v22
	v_cmp_lt_u32_e64 s[4:5], 31, v2
	v_mad_u64_u32 v[22:23], s[8:9], v21, s18, 0
	s_nop 0
	v_cndmask_b32_e64 v4, 0, v8, s[4:5]
	v_add_u32_e32 v2, v4, v2
	v_cmp_lt_u32_e64 s[6:7], 31, v2
	s_nop 1
	v_cndmask_b32_e64 v4, 0, v8, s[6:7]
	v_add_u32_e32 v4, v4, v2
	v_mov_b32_e32 v2, v23
	v_mad_u64_u32 v[24:25], s[8:9], v21, s19, v[2:3]
	v_mov_b32_e32 v2, v25
	v_mad_u64_u32 v[26:27], s[8:9], v21, s20, v[2:3]
	;; [unrolled: 2-line block ×6, first 2 shown]
	v_cndmask_b32_e32 v23, v32, v28, vcc
	v_cndmask_b32_e32 v2, v20, v30, vcc
	;; [unrolled: 1-line block ×3, first 2 shown]
	v_cndmask_b32_e64 v20, v2, v23, s[4:5]
	v_cndmask_b32_e64 v2, v21, v2, s[4:5]
	v_cndmask_b32_e32 v21, v30, v26, vcc
	v_cndmask_b32_e64 v23, v23, v21, s[4:5]
	v_sub_u32_e32 v25, 32, v4
	v_cmp_eq_u32_e64 s[8:9], 0, v4
	v_cndmask_b32_e32 v4, v28, v24, vcc
	v_cndmask_b32_e64 v2, v2, v20, s[6:7]
	v_cndmask_b32_e64 v20, v20, v23, s[6:7]
	;; [unrolled: 1-line block ×3, first 2 shown]
	v_alignbit_b32 v27, v2, v20, v25
	v_cndmask_b32_e64 v23, v23, v21, s[6:7]
	v_cndmask_b32_e64 v2, v27, v2, s[8:9]
	v_alignbit_b32 v24, v20, v23, v25
	v_cndmask_b32_e32 v22, v26, v22, vcc
	v_cndmask_b32_e64 v20, v24, v20, s[8:9]
	v_bfe_u32 v28, v2, 29, 1
	v_cndmask_b32_e64 v4, v4, v22, s[4:5]
	v_alignbit_b32 v24, v2, v20, 30
	v_sub_u32_e32 v29, 0, v28
	v_cndmask_b32_e64 v4, v21, v4, s[6:7]
	v_xor_b32_e32 v24, v24, v29
	v_alignbit_b32 v21, v23, v4, v25
	v_cndmask_b32_e64 v21, v21, v23, s[8:9]
	v_ffbh_u32_e32 v22, v24
	v_alignbit_b32 v20, v20, v21, 30
	v_min_u32_e32 v22, 32, v22
	v_alignbit_b32 v4, v21, v4, 30
	v_xor_b32_e32 v20, v20, v29
	v_sub_u32_e32 v23, 31, v22
	v_xor_b32_e32 v4, v4, v29
	v_alignbit_b32 v24, v24, v20, v23
	v_alignbit_b32 v4, v20, v4, v23
	;; [unrolled: 1-line block ×3, first 2 shown]
	v_ffbh_u32_e32 v21, v20
	v_min_u32_e32 v21, 32, v21
	v_lshrrev_b32_e32 v27, 29, v2
	v_not_b32_e32 v23, v21
	v_alignbit_b32 v4, v20, v4, v23
	v_lshlrev_b32_e32 v20, 31, v27
	v_or_b32_e32 v23, 0x33000000, v20
	v_add_lshl_u32 v21, v21, v22, 23
	v_lshrrev_b32_e32 v4, 9, v4
	v_sub_u32_e32 v21, v23, v21
	v_or_b32_e32 v20, 0.5, v20
	v_lshlrev_b32_e32 v22, 23, v22
	v_or_b32_e32 v4, v21, v4
	v_lshrrev_b32_e32 v21, 9, v24
	v_sub_u32_e32 v20, v20, v22
	v_or_b32_e32 v20, v21, v20
	v_mul_f32_e32 v21, 0x3fc90fda, v20
	v_fma_f32 v22, v20, s25, -v21
	v_fmac_f32_e32 v22, 0x33a22168, v20
	v_fmac_f32_e32 v22, 0x3fc90fda, v4
	v_lshrrev_b32_e32 v2, 30, v2
	v_add_f32_e32 v20, v21, v22
	v_add_u32_e32 v4, v28, v2
                                        ; implicit-def: $vgpr2
	s_andn2_saveexec_b64 s[4:5], s[12:13]
	s_cbranch_execnz .LBB2_17
	s_branch .LBB2_18
.LBB2_16:                               ;   in Loop: Header=BB2_2 Depth=1
	s_andn2_saveexec_b64 s[4:5], s[12:13]
.LBB2_17:                               ;   in Loop: Header=BB2_2 Depth=1
	v_cvt_i32_f32_e32 v4, v2
	v_fma_f32 v20, v2, s27, |v16|
	v_fmac_f32_e32 v20, 0xb3a22168, v2
	v_fmac_f32_e32 v20, 0xa7c234c4, v2
.LBB2_18:                               ;   in Loop: Header=BB2_2 Depth=1
	s_or_b64 exec, exec, s[4:5]
	v_lshl_add_u64 v[22:23], s[48:49], 0, v[0:1]
	global_load_dword v21, v[22:23], off
                                        ; implicit-def: $vgpr25
                                        ; implicit-def: $vgpr26
	s_waitcnt vmcnt(0)
	v_and_b32_e32 v22, 0x7fffffff, v21
	v_lshrrev_b32_e32 v2, 23, v22
	v_and_b32_e32 v23, 0x7fffff, v22
	v_cmp_nlt_f32_e64 s[12:13], |v21|, s17
	v_add_u32_e32 v28, 0xffffff88, v2
	v_or_b32_e32 v27, 0x800000, v23
	s_and_saveexec_b64 s[4:5], s[12:13]
	s_xor_b64 s[14:15], exec, s[4:5]
	s_cbranch_execz .LBB2_20
; %bb.19:                               ;   in Loop: Header=BB2_2 Depth=1
	v_cmp_lt_u32_e32 vcc, 63, v28
	v_mad_u64_u32 v[24:25], s[8:9], v27, s18, 0
	s_nop 0
	v_cndmask_b32_e32 v2, 0, v7, vcc
	v_add_u32_e32 v2, v2, v28
	v_cmp_lt_u32_e64 s[4:5], 31, v2
	s_nop 1
	v_cndmask_b32_e64 v23, 0, v8, s[4:5]
	v_add_u32_e32 v2, v23, v2
	v_cmp_lt_u32_e64 s[6:7], 31, v2
	s_nop 1
	v_cndmask_b32_e64 v23, 0, v8, s[6:7]
	v_add_u32_e32 v23, v23, v2
	v_mov_b32_e32 v2, v25
	v_mad_u64_u32 v[30:31], s[8:9], v27, s19, v[2:3]
	v_mov_b32_e32 v2, v31
	v_mad_u64_u32 v[32:33], s[8:9], v27, s20, v[2:3]
	;; [unrolled: 2-line block ×6, first 2 shown]
	v_cndmask_b32_e32 v25, v38, v34, vcc
	v_cndmask_b32_e32 v2, v40, v36, vcc
	;; [unrolled: 1-line block ×3, first 2 shown]
	v_cndmask_b32_e64 v26, v2, v25, s[4:5]
	v_cndmask_b32_e64 v2, v29, v2, s[4:5]
	v_cndmask_b32_e32 v29, v36, v32, vcc
	v_cndmask_b32_e64 v25, v25, v29, s[4:5]
	v_sub_u32_e32 v31, 32, v23
	v_cmp_eq_u32_e64 s[8:9], 0, v23
	v_cndmask_b32_e32 v23, v34, v30, vcc
	v_cndmask_b32_e64 v2, v2, v26, s[6:7]
	v_cndmask_b32_e64 v26, v26, v25, s[6:7]
	;; [unrolled: 1-line block ×3, first 2 shown]
	v_alignbit_b32 v33, v2, v26, v31
	v_cndmask_b32_e64 v25, v25, v29, s[6:7]
	v_cndmask_b32_e32 v24, v32, v24, vcc
	v_cndmask_b32_e64 v2, v33, v2, s[8:9]
	v_alignbit_b32 v30, v26, v25, v31
	v_cndmask_b32_e64 v23, v23, v24, s[4:5]
	v_cndmask_b32_e64 v26, v30, v26, s[8:9]
	v_bfe_u32 v34, v2, 29, 1
	v_cndmask_b32_e64 v23, v29, v23, s[6:7]
	v_alignbit_b32 v30, v2, v26, 30
	v_sub_u32_e32 v35, 0, v34
	v_alignbit_b32 v24, v25, v23, v31
	v_xor_b32_e32 v30, v30, v35
	v_cndmask_b32_e64 v24, v24, v25, s[8:9]
	v_alignbit_b32 v25, v26, v24, 30
	v_ffbh_u32_e32 v26, v30
	v_min_u32_e32 v26, 32, v26
	v_alignbit_b32 v23, v24, v23, 30
	v_xor_b32_e32 v25, v25, v35
	v_sub_u32_e32 v29, 31, v26
	v_xor_b32_e32 v23, v23, v35
	v_alignbit_b32 v30, v30, v25, v29
	v_alignbit_b32 v23, v25, v23, v29
	;; [unrolled: 1-line block ×3, first 2 shown]
	v_ffbh_u32_e32 v25, v24
	v_min_u32_e32 v25, 32, v25
	v_lshrrev_b32_e32 v33, 29, v2
	v_not_b32_e32 v29, v25
	v_alignbit_b32 v23, v24, v23, v29
	v_lshlrev_b32_e32 v24, 31, v33
	v_or_b32_e32 v29, 0x33000000, v24
	v_add_lshl_u32 v25, v25, v26, 23
	v_lshrrev_b32_e32 v23, 9, v23
	v_sub_u32_e32 v25, v29, v25
	v_or_b32_e32 v24, 0.5, v24
	v_lshlrev_b32_e32 v26, 23, v26
	v_or_b32_e32 v23, v25, v23
	v_lshrrev_b32_e32 v25, 9, v30
	v_sub_u32_e32 v24, v24, v26
	v_or_b32_e32 v24, v25, v24
	v_mul_f32_e32 v25, 0x3fc90fda, v24
	v_fma_f32 v26, v24, s25, -v25
	v_fmac_f32_e32 v26, 0x33a22168, v24
	v_fmac_f32_e32 v26, 0x3fc90fda, v23
	v_lshrrev_b32_e32 v2, 30, v2
	v_add_f32_e32 v26, v25, v26
	v_add_u32_e32 v25, v34, v2
.LBB2_20:                               ;   in Loop: Header=BB2_2 Depth=1
	s_or_saveexec_b64 s[4:5], s[14:15]
	v_mul_f32_e64 v2, |v21|, s26
	v_rndne_f32_e32 v2, v2
	s_xor_b64 exec, exec, s[4:5]
; %bb.21:                               ;   in Loop: Header=BB2_2 Depth=1
	v_cvt_i32_f32_e32 v25, v2
	v_fma_f32 v26, v2, s27, |v21|
	v_fmac_f32_e32 v26, 0xb3a22168, v2
	v_fmac_f32_e32 v26, 0xa7c234c4, v2
; %bb.22:                               ;   in Loop: Header=BB2_2 Depth=1
	s_or_b64 exec, exec, s[4:5]
                                        ; implicit-def: $vgpr23
                                        ; implicit-def: $vgpr24
	s_and_saveexec_b64 s[4:5], s[12:13]
	s_xor_b64 s[12:13], exec, s[4:5]
	s_cbranch_execz .LBB2_24
; %bb.23:                               ;   in Loop: Header=BB2_2 Depth=1
	v_cmp_lt_u32_e32 vcc, 63, v28
	s_nop 1
	v_cndmask_b32_e32 v2, 0, v7, vcc
	v_add_u32_e32 v2, v2, v28
	v_cmp_lt_u32_e64 s[4:5], 31, v2
	v_mad_u64_u32 v[28:29], s[8:9], v27, s18, 0
	s_nop 0
	v_cndmask_b32_e64 v23, 0, v8, s[4:5]
	v_add_u32_e32 v2, v23, v2
	v_cmp_lt_u32_e64 s[6:7], 31, v2
	s_nop 1
	v_cndmask_b32_e64 v23, 0, v8, s[6:7]
	v_add_u32_e32 v23, v23, v2
	v_mov_b32_e32 v2, v29
	v_mad_u64_u32 v[30:31], s[8:9], v27, s19, v[2:3]
	v_mov_b32_e32 v2, v31
	v_mad_u64_u32 v[32:33], s[8:9], v27, s20, v[2:3]
	;; [unrolled: 2-line block ×6, first 2 shown]
	v_cndmask_b32_e32 v24, v38, v34, vcc
	v_cndmask_b32_e32 v2, v40, v36, vcc
	;; [unrolled: 1-line block ×3, first 2 shown]
	v_cndmask_b32_e64 v27, v2, v24, s[4:5]
	v_cndmask_b32_e64 v2, v29, v2, s[4:5]
	v_cndmask_b32_e32 v29, v36, v32, vcc
	v_cndmask_b32_e64 v24, v24, v29, s[4:5]
	v_sub_u32_e32 v31, 32, v23
	v_cmp_eq_u32_e64 s[8:9], 0, v23
	v_cndmask_b32_e32 v23, v34, v30, vcc
	v_cndmask_b32_e64 v2, v2, v27, s[6:7]
	v_cndmask_b32_e64 v27, v27, v24, s[6:7]
	v_cndmask_b32_e64 v29, v29, v23, s[4:5]
	v_alignbit_b32 v33, v2, v27, v31
	v_cndmask_b32_e64 v24, v24, v29, s[6:7]
	v_cndmask_b32_e64 v2, v33, v2, s[8:9]
	v_alignbit_b32 v30, v27, v24, v31
	v_cndmask_b32_e32 v28, v32, v28, vcc
	v_cndmask_b32_e64 v27, v30, v27, s[8:9]
	v_bfe_u32 v34, v2, 29, 1
	v_cndmask_b32_e64 v23, v23, v28, s[4:5]
	v_alignbit_b32 v30, v2, v27, 30
	v_sub_u32_e32 v35, 0, v34
	v_cndmask_b32_e64 v23, v29, v23, s[6:7]
	v_xor_b32_e32 v30, v30, v35
	v_alignbit_b32 v28, v24, v23, v31
	v_cndmask_b32_e64 v24, v28, v24, s[8:9]
	v_ffbh_u32_e32 v28, v30
	v_alignbit_b32 v27, v27, v24, 30
	v_min_u32_e32 v28, 32, v28
	v_alignbit_b32 v23, v24, v23, 30
	v_xor_b32_e32 v27, v27, v35
	v_sub_u32_e32 v29, 31, v28
	v_xor_b32_e32 v23, v23, v35
	v_alignbit_b32 v30, v30, v27, v29
	v_alignbit_b32 v23, v27, v23, v29
	;; [unrolled: 1-line block ×3, first 2 shown]
	v_ffbh_u32_e32 v27, v24
	v_min_u32_e32 v27, 32, v27
	v_lshrrev_b32_e32 v33, 29, v2
	v_not_b32_e32 v29, v27
	v_alignbit_b32 v23, v24, v23, v29
	v_lshlrev_b32_e32 v24, 31, v33
	v_or_b32_e32 v29, 0x33000000, v24
	v_add_lshl_u32 v27, v27, v28, 23
	v_lshrrev_b32_e32 v23, 9, v23
	v_sub_u32_e32 v27, v29, v27
	v_or_b32_e32 v24, 0.5, v24
	v_lshlrev_b32_e32 v28, 23, v28
	v_or_b32_e32 v23, v27, v23
	v_lshrrev_b32_e32 v27, 9, v30
	v_sub_u32_e32 v24, v24, v28
	v_or_b32_e32 v24, v27, v24
	v_mul_f32_e32 v27, 0x3fc90fda, v24
	v_fma_f32 v28, v24, s25, -v27
	v_fmac_f32_e32 v28, 0x33a22168, v24
	v_fmac_f32_e32 v28, 0x3fc90fda, v23
	v_lshrrev_b32_e32 v2, 30, v2
	v_add_f32_e32 v24, v27, v28
	v_add_u32_e32 v23, v34, v2
                                        ; implicit-def: $vgpr2
	s_andn2_saveexec_b64 s[4:5], s[12:13]
	s_cbranch_execz .LBB2_1
	s_branch .LBB2_25
.LBB2_24:                               ;   in Loop: Header=BB2_2 Depth=1
	s_andn2_saveexec_b64 s[4:5], s[12:13]
	s_cbranch_execz .LBB2_1
.LBB2_25:                               ;   in Loop: Header=BB2_2 Depth=1
	v_cvt_i32_f32_e32 v23, v2
	v_fma_f32 v24, v2, s27, |v21|
	v_fmac_f32_e32 v24, 0xb3a22168, v2
	v_fmac_f32_e32 v24, 0xa7c234c4, v2
	s_branch .LBB2_1
.LBB2_26:
	scratch_load_dwordx4 v[0:3], off, off offset:160
	scratch_load_dwordx4 v[4:7], off, off offset:192
	;; [unrolled: 1-line block ×12, first 2 shown]
	scratch_load_dwordx4 v[36:39], off, off
	s_load_dwordx2 s[4:5], s[0:1], 0x0
	s_load_dwordx4 s[44:47], s[0:1], 0x48
	s_mov_b32 s49, 0
	v_mov_b32_e32 v53, 0
	s_movk_i32 s51, 0x46
	s_waitcnt lgkmcnt(0)
	s_max_i32 s58, s5, 1
	s_max_i32 s59, s4, 1
	s_add_u32 s52, s40, 8
	s_movk_i32 s56, 0x45
	s_mov_b32 s57, 0xf800000
	v_mov_b32_e32 v77, 0x260
	s_mov_b32 s50, 0x42340000
	v_mov_b32_e32 v78, 0x40b00000
	v_mov_b32_e32 v79, 0xff7fffff
	;; [unrolled: 1-line block ×4, first 2 shown]
	s_mov_b32 s48, s49
	s_addc_u32 s53, s41, 0
	s_waitcnt vmcnt(12)
	v_mov_b32_e32 v54, v3
	s_waitcnt vmcnt(11)
	v_mov_b32_e32 v55, v7
	v_mov_b32_e32 v56, v0
	v_mov_b32_e32 v57, v4
	v_mov_b32_e32 v4, v1
	v_mov_b32_e32 v3, v6
	s_waitcnt vmcnt(10)
	v_mov_b32_e32 v0, v11
	s_waitcnt vmcnt(9)
	v_mov_b32_e32 v1, v15
	v_mov_b32_e32 v58, v8
	v_mov_b32_e32 v59, v12
	v_mov_b32_e32 v12, v9
	v_mov_b32_e32 v11, v14
	;; [unrolled: 8-line block ×4, first 2 shown]
.LBB2_27:                               ; =>This Loop Header: Depth=1
                                        ;     Child Loop BB2_28 Depth 2
	s_lshl_b64 s[0:1], s[48:49], 4
	s_add_u32 s0, s42, s0
	s_addc_u32 s1, s43, s1
	global_load_dwordx4 v[14:17], v53, s[0:1]
	s_mov_b32 s60, s58
	s_mov_b64 s[54:55], s[52:53]
	s_waitcnt vmcnt(0)
	v_ashrrev_i32_e32 v7, 31, v17
	v_mov_b32_e32 v6, v17
	v_lshlrev_b64 v[6:7], 4, v[6:7]
	v_lshl_add_u64 v[6:7], s[46:47], 0, v[6:7]
	global_load_dwordx4 v[6:9], v[6:7], off
	v_fma_f32 v82, v14, v32, v35
	v_pk_fma_f32 v[24:25], v[14:15], v[64:65], v[22:23] op_sel_hi:[0,1,1]
	v_fma_f32 v83, v14, v40, v43
	v_pk_fma_f32 v[30:31], v[14:15], v[62:63], v[60:61] op_sel_hi:[0,1,1]
	;; [unrolled: 2-line block ×4, first 2 shown]
	v_fmac_f32_e32 v82, v15, v33
	v_pk_fma_f32 v[24:25], v[14:15], v[28:29], v[24:25] op_sel:[1,0,0]
	v_fmac_f32_e32 v83, v15, v41
	v_pk_fma_f32 v[30:31], v[14:15], v[20:21], v[30:31] op_sel:[1,0,0]
	;; [unrolled: 2-line block ×4, first 2 shown]
	v_fmac_f32_e32 v82, v16, v34
	v_pk_fma_f32 v[24:25], v[16:17], v[26:27], v[24:25] op_sel_hi:[0,1,1]
	v_fmac_f32_e32 v83, v16, v42
	v_pk_fma_f32 v[30:31], v[16:17], v[18:19], v[30:31] op_sel_hi:[0,1,1]
	;; [unrolled: 2-line block ×4, first 2 shown]
	s_waitcnt vmcnt(0)
	v_cmp_gt_f32_e64 s[8:9], 0, v8
	v_cmp_lt_f32_e64 s[0:1], 0, v8
	v_cmp_eq_u32_e64 s[4:5], s51, v6
	v_cmp_eq_u32_e64 s[6:7], s56, v6
	v_cndmask_b32_e64 v86, 1.0, v78, s[8:9]
	v_cndmask_b32_e64 v87, v79, 1.0, s[8:9]
.LBB2_28:                               ;   Parent Loop BB2_27 Depth=1
                                        ; =>  This Inner Loop Header: Depth=2
	global_load_dwordx4 v[14:17], v53, s[54:55] offset:-8
	s_waitcnt vmcnt(0)
	v_ashrrev_i32_e32 v71, 31, v17
	v_mov_b32_e32 v70, v17
	v_sub_f32_e32 v6, v82, v15
	v_mov_b32_e32 v72, v14
	v_mov_b32_e32 v73, v16
	v_sub_f32_e32 v76, v83, v15
	v_sub_f32_e32 v90, v84, v15
	v_sub_f32_e32 v91, v85, v15
	v_lshlrev_b64 v[14:15], 4, v[70:71]
	v_pk_add_f32 v[16:17], v[24:25], v[72:73] neg_lo:[0,1] neg_hi:[0,1]
	v_lshl_add_u64 v[14:15], s[46:47], 0, v[14:15]
	v_pk_mul_f32 v[88:89], v[16:17], v[16:17]
	global_load_dwordx4 v[14:17], v[14:15], off
	v_pk_add_f32 v[70:71], v[30:31], v[72:73] neg_lo:[0,1] neg_hi:[0,1]
	v_pk_add_f32 v[74:75], v[66:67], v[72:73] neg_lo:[0,1] neg_hi:[0,1]
	;; [unrolled: 1-line block ×3, first 2 shown]
	v_pk_mul_f32 v[70:71], v[70:71], v[70:71]
	v_pk_mul_f32 v[74:75], v[74:75], v[74:75]
	;; [unrolled: 1-line block ×3, first 2 shown]
	v_fma_f32 v6, v6, v6, v88
	v_fma_f32 v70, v76, v76, v70
	;; [unrolled: 1-line block ×4, first 2 shown]
	v_add_f32_e32 v6, v6, v89
	v_add_f32_e32 v70, v70, v71
	;; [unrolled: 1-line block ×4, first 2 shown]
	v_mul_f32_e32 v73, 0x4f800000, v6
	v_mul_f32_e32 v74, 0x4f800000, v70
	v_cmp_gt_f32_e32 vcc, s57, v70
	v_mul_f32_e32 v75, 0x4f800000, v71
	v_cmp_gt_f32_e64 s[10:11], s57, v71
	v_cmp_gt_f32_e64 s[14:15], s57, v6
	v_mul_f32_e32 v76, 0x4f800000, v72
	v_cmp_gt_f32_e64 s[12:13], s57, v72
	v_cndmask_b32_e64 v6, v6, v73, s[14:15]
	v_cndmask_b32_e32 v73, v70, v74, vcc
	v_cndmask_b32_e64 v74, v71, v75, s[10:11]
	v_cndmask_b32_e64 v75, v72, v76, s[12:13]
	v_sqrt_f32_e32 v70, v6
	v_sqrt_f32_e32 v72, v74
	;; [unrolled: 1-line block ×4, first 2 shown]
	v_add_u32_e32 v88, -1, v70
	v_add_u32_e32 v92, -1, v72
	v_add_u32_e32 v89, 1, v70
	v_add_u32_e32 v90, -1, v71
	v_add_u32_e32 v93, 1, v72
	v_add_u32_e32 v94, -1, v76
	v_fma_f32 v96, -v88, v70, v6
	v_fma_f32 v100, -v92, v72, v74
	v_add_u32_e32 v91, 1, v71
	v_add_u32_e32 v95, 1, v76
	v_fma_f32 v97, -v89, v70, v6
	v_fma_f32 v98, -v90, v71, v73
	v_fma_f32 v101, -v93, v72, v74
	v_fma_f32 v102, -v94, v76, v75
	v_cmp_ge_f32_e64 s[24:25], 0, v96
	v_cmp_ge_f32_e64 s[30:31], 0, v100
	v_fma_f32 v99, -v91, v71, v73
	v_fma_f32 v103, -v95, v76, v75
	v_cmp_ge_f32_e64 s[26:27], 0, v98
	v_cmp_lt_f32_e64 s[34:35], 0, v101
	v_cmp_ge_f32_e64 s[36:37], 0, v102
	v_cmp_lt_f32_e64 s[40:41], 0, v97
	v_cndmask_b32_e64 v70, v70, v88, s[24:25]
	v_cndmask_b32_e64 v72, v72, v92, s[30:31]
	v_cmp_lt_f32_e64 s[28:29], 0, v99
	v_cmp_lt_f32_e64 s[38:39], 0, v103
	v_cndmask_b32_e64 v71, v71, v90, s[26:27]
	v_cndmask_b32_e64 v76, v76, v94, s[36:37]
	;; [unrolled: 1-line block ×6, first 2 shown]
	v_mul_f32_e32 v88, 0x37800000, v70
	v_mul_f32_e32 v90, 0x37800000, v72
	v_cmp_class_f32_e64 s[18:19], v74, v77
	v_cmp_class_f32_e64 s[22:23], v6, v77
	v_mul_f32_e32 v89, 0x37800000, v71
	v_mul_f32_e32 v91, 0x37800000, v76
	v_cndmask_b32_e64 v70, v70, v88, s[14:15]
	v_cndmask_b32_e64 v72, v72, v90, s[10:11]
	v_cmp_class_f32_e64 s[16:17], v73, v77
	v_cmp_class_f32_e64 s[20:21], v75, v77
	v_cndmask_b32_e32 v71, v71, v89, vcc
	v_cndmask_b32_e64 v76, v76, v91, s[12:13]
	v_cndmask_b32_e64 v70, v70, v6, s[22:23]
	;; [unrolled: 1-line block ×5, first 2 shown]
	s_waitcnt vmcnt(0)
	v_add_f32_e32 v6, v7, v15
	v_cmp_gt_f32_e64 s[18:19], 0, v16
	v_cmp_eq_u32_e64 s[12:13], s51, v14
	v_cmp_eq_u32_e64 s[14:15], s56, v14
	v_cndmask_b32_e64 v104, v87, v86, s[18:19]
	v_div_scale_f32 v105, s[20:21], v6, v6, 1.0
	v_cmp_lt_f32_e64 s[16:17], 0, v16
	s_and_b64 s[12:13], s[12:13], s[4:5]
	s_and_b64 s[18:19], s[18:19], s[0:1]
	s_or_b64 s[40:41], s[14:15], s[6:7]
	v_div_scale_f32 v107, s[14:15], v104, v104, 1.0
	v_rcp_f32_e32 v109, v105
	v_cmp_neq_f32_e64 s[10:11], 0, v16
	v_mul_f32_e32 v76, v9, v17
	s_and_b64 s[16:17], s[16:17], s[8:9]
	v_pk_add_f32 v[14:15], v[70:71], v[6:7] op_sel_hi:[1,0] neg_lo:[0,1] neg_hi:[0,1]
	v_pk_add_f32 v[74:75], v[72:73], v[6:7] op_sel_hi:[1,0] neg_lo:[0,1] neg_hi:[0,1]
	v_cndmask_b32_e64 v17, 2.0, 4.0, s[12:13]
	v_cndmask_b32_e64 v88, v16, -v16, s[18:19]
	v_cndmask_b32_e64 v16, 0.5, v80, s[12:13]
	v_rcp_f32_e32 v110, v107
	v_cndmask_b32_e64 v89, v8, -v8, s[16:17]
	v_cmp_gt_f32_e64 s[12:13], 0, v15
	v_cmp_gt_f32_e64 s[16:17], 0, v14
	;; [unrolled: 1-line block ×4, first 2 shown]
	v_cmp_lt_f32_e64 s[30:31], v15, v17
	v_cmp_lt_f32_e64 s[34:35], v14, v17
	;; [unrolled: 1-line block ×4, first 2 shown]
	v_pk_fma_f32 v[94:95], v[16:17], v[14:15], 1.0 op_sel_hi:[0,1,0] neg_lo:[1,0,0] neg_hi:[1,0,0]
	v_pk_fma_f32 v[16:17], v[16:17], v[74:75], 1.0 op_sel_hi:[0,1,0] neg_lo:[1,0,0] neg_hi:[1,0,0]
	v_cndmask_b32_e64 v97, 0, 1.0, s[30:31]
	v_cndmask_b32_e64 v96, 0, 1.0, s[34:35]
	;; [unrolled: 1-line block ×8, first 2 shown]
	v_pk_mul_f32 v[94:95], v[96:97], v[94:95]
	v_pk_mul_f32 v[16:17], v[98:99], v[16:17]
	v_fma_f32 v96, -v105, v109, 1.0
	v_div_scale_f32 v106, vcc, 1.0, v6, 1.0
	v_pk_mul_f32 v[94:95], v[76:77], v[94:95] op_sel_hi:[0,1]
	v_pk_mul_f32 v[16:17], v[76:77], v[16:17] op_sel_hi:[0,1]
	v_fma_f32 v76, -v107, v110, 1.0
	v_fmac_f32_e32 v109, v96, v109
	v_div_scale_f32 v108, s[14:15], 1.0, v104, 1.0
	v_fmac_f32_e32 v110, v76, v110
	v_mul_f32_e32 v76, v106, v109
	v_mul_f32_e32 v96, v108, v110
	v_fma_f32 v97, -v105, v76, v106
	v_fma_f32 v98, -v107, v96, v108
	v_fmac_f32_e32 v76, v97, v109
	v_fmac_f32_e32 v96, v98, v110
	v_fma_f32 v97, -v105, v76, v106
	v_fma_f32 v98, -v107, v96, v108
	v_div_fmas_f32 v76, v97, v109, v76
	s_mov_b64 vcc, s[14:15]
	v_cmp_lt_f32_e64 s[18:19], v15, v104
	v_cmp_lt_f32_e64 s[20:21], v14, v104
	;; [unrolled: 1-line block ×4, first 2 shown]
	v_div_fixup_f32 v6, v76, v6, 1.0
	v_div_fmas_f32 v76, v98, v110, v96
	v_cndmask_b32_e64 v91, 0, v81, s[12:13]
	v_cndmask_b32_e64 v90, 0, v81, s[16:17]
	;; [unrolled: 1-line block ×4, first 2 shown]
	s_and_b64 s[18:19], s[10:11], s[18:19]
	s_and_b64 s[20:21], s[10:11], s[20:21]
	;; [unrolled: 1-line block ×4, first 2 shown]
	v_div_fixup_f32 v76, v76, v104, 1.0
	v_pk_fma_f32 v[70:71], v[6:7], v[70:71], 1.0 op_sel_hi:[0,1,0] neg_lo:[1,0,0] neg_hi:[1,0,0]
	v_pk_fma_f32 v[72:73], v[6:7], v[72:73], 1.0 op_sel_hi:[0,1,0] neg_lo:[1,0,0] neg_hi:[1,0,0]
	v_add_f32_e32 v88, v88, v89
	v_cndmask_b32_e64 v101, 0, 1.0, s[18:19]
	v_cndmask_b32_e64 v100, 0, 1.0, s[20:21]
	;; [unrolled: 1-line block ×4, first 2 shown]
	s_add_u32 s54, s54, 16
	v_cndmask_b32_e64 v95, v95, -|v95|, s[40:41]
	v_cndmask_b32_e64 v94, v94, -|v94|, s[40:41]
	;; [unrolled: 1-line block ×4, first 2 shown]
	v_pk_fma_f32 v[36:37], v[70:71], v[90:91], v[36:37]
	v_pk_fma_f32 v[14:15], v[76:77], v[14:15], 1.0 op_sel_hi:[0,1,0] neg_lo:[1,0,0] neg_hi:[1,0,0]
	v_pk_fma_f32 v[38:39], v[72:73], v[92:93], v[38:39]
	v_pk_fma_f32 v[70:71], v[76:77], v[74:75], 1.0 op_sel_hi:[0,1,0] neg_lo:[1,0,0] neg_hi:[1,0,0]
	v_pk_mul_f32 v[100:101], v[88:89], v[100:101] op_sel_hi:[0,1]
	v_pk_mul_f32 v[88:89], v[88:89], v[102:103] op_sel_hi:[0,1]
	s_addc_u32 s55, s55, 0
	s_add_i32 s60, s60, -1
	v_pk_fma_f32 v[36:37], v[94:95], s[50:51], v[36:37] op_sel_hi:[1,0,1]
	v_cndmask_b32_e64 v15, v15, 1.0, s[12:13]
	v_cndmask_b32_e64 v14, v14, 1.0, s[16:17]
	v_pk_fma_f32 v[16:17], v[16:17], s[50:51], v[38:39] op_sel_hi:[1,0,1]
	v_cndmask_b32_e64 v39, v71, 1.0, s[22:23]
	v_cndmask_b32_e64 v38, v70, 1.0, s[24:25]
	s_cmp_lg_u32 s60, 0
	v_pk_fma_f32 v[36:37], v[14:15], v[100:101], v[36:37]
	v_pk_fma_f32 v[38:39], v[38:39], v[88:89], v[16:17]
	s_cbranch_scc1 .LBB2_28
; %bb.29:                               ;   in Loop: Header=BB2_27 Depth=1
	s_add_i32 s48, s48, 1
	s_cmp_lg_u32 s48, s59
	s_cbranch_scc1 .LBB2_27
; %bb.30:
	scratch_store_dwordx4 off, v[36:39], off
	s_and_saveexec_b64 s[0:1], s[2:3]
	s_cbranch_execz .LBB2_32
; %bb.31:
	v_mov_b32_e32 v53, 0
	v_mul_f32_e32 v2, 0.5, v36
	v_lshl_add_u64 v[0:1], v[52:53], 2, s[44:45]
	v_add_u32_e32 v52, s33, v52
	global_store_dword v[0:1], v2, off
	v_mul_f32_e32 v2, 0.5, v37
	v_lshl_add_u64 v[0:1], v[52:53], 2, s[44:45]
	v_add_u32_e32 v52, s33, v52
	global_store_dword v[0:1], v2, off
	;; [unrolled: 4-line block ×3, first 2 shown]
	v_mul_f32_e32 v2, 0.5, v39
	v_lshl_add_u64 v[0:1], v[52:53], 2, s[44:45]
	global_store_dword v[0:1], v2, off
.LBB2_32:
	s_endpgm
	.section	.rodata,"a",@progbits
	.p2align	6, 0x0
	.amdhsa_kernel _ZL11fasten_mainILm4EEviiPK4AtomS2_PKfS4_S4_S4_S4_S4_PfPK8FFParamsi
		.amdhsa_group_segment_fixed_size 0
		.amdhsa_private_segment_fixed_size 224
		.amdhsa_kernarg_size 352
		.amdhsa_user_sgpr_count 2
		.amdhsa_user_sgpr_dispatch_ptr 0
		.amdhsa_user_sgpr_queue_ptr 0
		.amdhsa_user_sgpr_kernarg_segment_ptr 1
		.amdhsa_user_sgpr_dispatch_id 0
		.amdhsa_user_sgpr_kernarg_preload_length 0
		.amdhsa_user_sgpr_kernarg_preload_offset 0
		.amdhsa_user_sgpr_private_segment_size 0
		.amdhsa_uses_dynamic_stack 0
		.amdhsa_enable_private_segment 1
		.amdhsa_system_sgpr_workgroup_id_x 1
		.amdhsa_system_sgpr_workgroup_id_y 0
		.amdhsa_system_sgpr_workgroup_id_z 0
		.amdhsa_system_sgpr_workgroup_info 0
		.amdhsa_system_vgpr_workitem_id 0
		.amdhsa_next_free_vgpr 111
		.amdhsa_next_free_sgpr 61
		.amdhsa_accum_offset 112
		.amdhsa_reserve_vcc 1
		.amdhsa_float_round_mode_32 0
		.amdhsa_float_round_mode_16_64 0
		.amdhsa_float_denorm_mode_32 3
		.amdhsa_float_denorm_mode_16_64 3
		.amdhsa_dx10_clamp 1
		.amdhsa_ieee_mode 1
		.amdhsa_fp16_overflow 0
		.amdhsa_tg_split 0
		.amdhsa_exception_fp_ieee_invalid_op 0
		.amdhsa_exception_fp_denorm_src 0
		.amdhsa_exception_fp_ieee_div_zero 0
		.amdhsa_exception_fp_ieee_overflow 0
		.amdhsa_exception_fp_ieee_underflow 0
		.amdhsa_exception_fp_ieee_inexact 0
		.amdhsa_exception_int_div_zero 0
	.end_amdhsa_kernel
	.section	.text._ZL11fasten_mainILm4EEviiPK4AtomS2_PKfS4_S4_S4_S4_S4_PfPK8FFParamsi,"axG",@progbits,_ZL11fasten_mainILm4EEviiPK4AtomS2_PKfS4_S4_S4_S4_S4_PfPK8FFParamsi,comdat
.Lfunc_end2:
	.size	_ZL11fasten_mainILm4EEviiPK4AtomS2_PKfS4_S4_S4_S4_S4_PfPK8FFParamsi, .Lfunc_end2-_ZL11fasten_mainILm4EEviiPK4AtomS2_PKfS4_S4_S4_S4_S4_PfPK8FFParamsi
                                        ; -- End function
	.set _ZL11fasten_mainILm4EEviiPK4AtomS2_PKfS4_S4_S4_S4_S4_PfPK8FFParamsi.num_vgpr, 111
	.set _ZL11fasten_mainILm4EEviiPK4AtomS2_PKfS4_S4_S4_S4_S4_PfPK8FFParamsi.num_agpr, 0
	.set _ZL11fasten_mainILm4EEviiPK4AtomS2_PKfS4_S4_S4_S4_S4_PfPK8FFParamsi.numbered_sgpr, 61
	.set _ZL11fasten_mainILm4EEviiPK4AtomS2_PKfS4_S4_S4_S4_S4_PfPK8FFParamsi.num_named_barrier, 0
	.set _ZL11fasten_mainILm4EEviiPK4AtomS2_PKfS4_S4_S4_S4_S4_PfPK8FFParamsi.private_seg_size, 224
	.set _ZL11fasten_mainILm4EEviiPK4AtomS2_PKfS4_S4_S4_S4_S4_PfPK8FFParamsi.uses_vcc, 1
	.set _ZL11fasten_mainILm4EEviiPK4AtomS2_PKfS4_S4_S4_S4_S4_PfPK8FFParamsi.uses_flat_scratch, 0
	.set _ZL11fasten_mainILm4EEviiPK4AtomS2_PKfS4_S4_S4_S4_S4_PfPK8FFParamsi.has_dyn_sized_stack, 0
	.set _ZL11fasten_mainILm4EEviiPK4AtomS2_PKfS4_S4_S4_S4_S4_PfPK8FFParamsi.has_recursion, 0
	.set _ZL11fasten_mainILm4EEviiPK4AtomS2_PKfS4_S4_S4_S4_S4_PfPK8FFParamsi.has_indirect_call, 0
	.section	.AMDGPU.csdata,"",@progbits
; Kernel info:
; codeLenInByte = 6836
; TotalNumSgprs: 67
; NumVgprs: 111
; NumAgprs: 0
; TotalNumVgprs: 111
; ScratchSize: 224
; MemoryBound: 0
; FloatMode: 240
; IeeeMode: 1
; LDSByteSize: 0 bytes/workgroup (compile time only)
; SGPRBlocks: 8
; VGPRBlocks: 13
; NumSGPRsForWavesPerEU: 67
; NumVGPRsForWavesPerEU: 111
; AccumOffset: 112
; Occupancy: 4
; WaveLimiterHint : 1
; COMPUTE_PGM_RSRC2:SCRATCH_EN: 1
; COMPUTE_PGM_RSRC2:USER_SGPR: 2
; COMPUTE_PGM_RSRC2:TRAP_HANDLER: 0
; COMPUTE_PGM_RSRC2:TGID_X_EN: 1
; COMPUTE_PGM_RSRC2:TGID_Y_EN: 0
; COMPUTE_PGM_RSRC2:TGID_Z_EN: 0
; COMPUTE_PGM_RSRC2:TIDIG_COMP_CNT: 0
; COMPUTE_PGM_RSRC3_GFX90A:ACCUM_OFFSET: 27
; COMPUTE_PGM_RSRC3_GFX90A:TG_SPLIT: 0
	.section	.text._ZL11fasten_mainILm8EEviiPK4AtomS2_PKfS4_S4_S4_S4_S4_PfPK8FFParamsi,"axG",@progbits,_ZL11fasten_mainILm8EEviiPK4AtomS2_PKfS4_S4_S4_S4_S4_PfPK8FFParamsi,comdat
	.globl	_ZL11fasten_mainILm8EEviiPK4AtomS2_PKfS4_S4_S4_S4_S4_PfPK8FFParamsi ; -- Begin function _ZL11fasten_mainILm8EEviiPK4AtomS2_PKfS4_S4_S4_S4_S4_PfPK8FFParamsi
	.p2align	8
	.type	_ZL11fasten_mainILm8EEviiPK4AtomS2_PKfS4_S4_S4_S4_S4_PfPK8FFParamsi,@function
_ZL11fasten_mainILm8EEviiPK4AtomS2_PKfS4_S4_S4_S4_S4_PfPK8FFParamsi: ; @_ZL11fasten_mainILm8EEviiPK4AtomS2_PKfS4_S4_S4_S4_S4_PfPK8FFParamsi
; %bb.0:
	s_load_dword s3, s[0:1], 0x6c
	s_load_dword s4, s[0:1], 0x58
	s_load_dwordx16 s[16:31], s[0:1], 0x8
	s_mov_b32 s9, 0
	s_mov_b32 s34, 0
	s_waitcnt lgkmcnt(0)
	s_and_b32 s33, s3, 0xffff
	s_mul_i32 s2, s2, s33
	v_lshl_add_u32 v4, s2, 3, v0
	s_add_i32 s2, s4, -8
	v_mov_b32_e32 v0, s2
	v_cmp_gt_i32_e64 s[12:13], s4, v4
	v_mov_b32_e32 v2, v4
	scratch_store_dwordx2 off, v[2:3], off offset:552 ; 8-byte Folded Spill
	v_cndmask_b32_e64 v0, v0, v4, s[12:13]
	v_ashrrev_i32_e32 v1, 31, v0
	v_lshlrev_b64 v[0:1], 2, v[0:1]
	s_lshl_b32 s8, s33, 2
	s_brev_b32 s35, 18
	s_mov_b32 s36, 0xfe5163ab
	v_mov_b32_e32 v3, 0
	s_mov_b32 s37, 0x3c439041
	s_mov_b32 s38, 0xdb629599
	;; [unrolled: 1-line block ×9, first 2 shown]
	v_mov_b32_e32 v5, 0x3c0881c4
	v_mov_b32_e32 v6, 0xbab64f3b
	s_brev_b32 s46, 1
	s_movk_i32 s47, 0x1f8
	v_not_b32_e32 v7, 63
	v_not_b32_e32 v8, 31
	v_mov_b32_e32 v9, 0x7fc00000
	s_mov_b32 s48, s9
                                        ; implicit-def: $vgpr2
                                        ; implicit-def: $vgpr2
	;; [unrolled: 1-line block ×3, first 2 shown]
	s_branch .LBB3_2
.LBB3_1:                                ;   in Loop: Header=BB3_2 Depth=1
	s_or_b64 exec, exec, s[2:3]
	v_mul_f32_e32 v2, v26, v26
	v_fmamk_f32 v27, v2, 0xb94c1982, v5
	v_fmaak_f32 v27, v2, v27, 0xbe2aaa9d
	v_mul_f32_e32 v27, v2, v27
	v_fmac_f32_e32 v26, v26, v27
	v_fmamk_f32 v27, v2, 0x37d75334, v6
	v_fmaak_f32 v27, v2, v27, 0x3d2aabf7
	v_fmaak_f32 v27, v2, v27, 0xbf000004
	v_fma_f32 v2, v2, v27, 1.0
	v_and_b32_e32 v27, 1, v25
	v_lshlrev_b32_e32 v25, 30, v25
	v_cmp_eq_u32_e32 vcc, 0, v27
	v_and_b32_e32 v25, 0x80000000, v25
	v_xor_b32_e32 v22, v22, v21
	v_cndmask_b32_e32 v2, v2, v26, vcc
	v_xor_b32_e32 v22, v22, v25
	v_cmp_class_f32_e64 vcc, v21, s47
	v_mul_f32_e32 v21, v20, v20
	v_xor_b32_e32 v2, v22, v2
	v_fmamk_f32 v22, v21, 0xb94c1982, v5
	v_fmaak_f32 v22, v21, v22, 0xbe2aaa9d
	v_mul_f32_e32 v22, v21, v22
	v_fmac_f32_e32 v20, v20, v22
	v_fmamk_f32 v22, v21, 0x37d75334, v6
	v_fmaak_f32 v22, v21, v22, 0x3d2aabf7
	v_fmaak_f32 v22, v21, v22, 0xbf000004
	v_fma_f32 v21, v21, v22, 1.0
	v_and_b32_e32 v22, 1, v4
	v_cmp_eq_u32_e64 s[2:3], 0, v22
	v_lshlrev_b32_e32 v4, 30, v4
	v_lshl_add_u64 v[26:27], s[28:29], 0, v[0:1]
	v_cndmask_b32_e64 v20, -v20, v21, s[2:3]
	v_bitop3_b32 v4, v4, v20, s46 bitop3:0x6c
	v_lshl_add_u64 v[20:21], s[26:27], 0, v[0:1]
	global_load_dword v21, v[20:21], off
	v_mul_f32_e32 v20, v19, v19
	global_load_dword v25, v[26:27], off
	v_lshl_add_u64 v[26:27], s[30:31], 0, v[0:1]
	global_load_dword v27, v[26:27], off
	v_fmamk_f32 v22, v20, 0xb94c1982, v5
	v_fmaak_f32 v22, v20, v22, 0xbe2aaa9d
	v_mul_f32_e32 v22, v20, v22
	v_fmac_f32_e32 v19, v19, v22
	v_fmamk_f32 v22, v20, 0x37d75334, v6
	v_fmaak_f32 v22, v20, v22, 0x3d2aabf7
	v_fmaak_f32 v22, v20, v22, 0xbf000004
	v_fma_f32 v20, v20, v22, 1.0
	v_and_b32_e32 v22, 1, v18
	v_lshlrev_b32_e32 v18, 30, v18
	v_cmp_class_f32_e64 s[2:3], v16, s47
	v_and_b32_e32 v18, 0x80000000, v18
	v_xor_b32_e32 v16, v17, v16
	v_mul_f32_e32 v17, v15, v15
	v_xor_b32_e32 v16, v16, v18
	v_fmamk_f32 v18, v17, 0xb94c1982, v5
	v_fmaak_f32 v18, v17, v18, 0xbe2aaa9d
	v_mul_f32_e32 v18, v17, v18
	v_fmac_f32_e32 v15, v15, v18
	v_fmamk_f32 v18, v17, 0x37d75334, v6
	v_cmp_eq_u32_e64 s[4:5], 0, v22
	v_fmaak_f32 v18, v17, v18, 0x3d2aabf7
	v_fmaak_f32 v18, v17, v18, 0xbf000004
	v_cndmask_b32_e64 v19, v20, v19, s[4:5]
	v_xor_b32_e32 v16, v16, v19
	v_fma_f32 v17, v17, v18, 1.0
	v_and_b32_e32 v18, 1, v14
	v_cndmask_b32_e64 v4, v9, v4, s[2:3]
	v_cndmask_b32_e64 v16, v9, v16, s[2:3]
	v_cmp_eq_u32_e64 s[2:3], 0, v18
	v_lshlrev_b32_e32 v14, 30, v14
	v_cndmask_b32_e32 v2, v9, v2, vcc
	v_cndmask_b32_e64 v15, -v15, v17, s[2:3]
	v_bitop3_b32 v14, v14, v15, s46 bitop3:0x6c
	v_cmp_class_f32_e64 s[2:3], v10, s47
	v_xor_b32_e32 v10, v11, v10
	v_lshl_add_u64 v[0:1], v[0:1], 0, s[8:9]
	v_cndmask_b32_e64 v15, v9, v14, s[2:3]
	v_mul_f32_e32 v14, v13, v13
	v_fmamk_f32 v17, v14, 0xb94c1982, v5
	v_fmaak_f32 v17, v14, v17, 0xbe2aaa9d
	v_mul_f32_e32 v17, v14, v17
	v_fmac_f32_e32 v13, v13, v17
	v_fmamk_f32 v17, v14, 0x37d75334, v6
	v_fmaak_f32 v17, v14, v17, 0x3d2aabf7
	v_fmaak_f32 v17, v14, v17, 0xbf000004
	v_fma_f32 v14, v14, v17, 1.0
	v_and_b32_e32 v17, 1, v12
	v_lshlrev_b32_e32 v12, 30, v12
	v_cmp_eq_u32_e64 s[4:5], 0, v17
	v_and_b32_e32 v12, 0x80000000, v12
	v_xor_b32_e32 v10, v10, v12
	v_cndmask_b32_e64 v13, v14, v13, s[4:5]
	v_xor_b32_e32 v10, v10, v13
	v_cndmask_b32_e64 v14, v9, v10, s[2:3]
	v_mul_f32_e32 v10, v24, v24
	v_fmamk_f32 v11, v10, 0xb94c1982, v5
	v_fmaak_f32 v11, v10, v11, 0xbe2aaa9d
	v_mul_f32_e32 v11, v10, v11
	v_fmac_f32_e32 v24, v24, v11
	v_fmamk_f32 v11, v10, 0x37d75334, v6
	v_fmaak_f32 v11, v10, v11, 0x3d2aabf7
	v_fmaak_f32 v11, v10, v11, 0xbf000004
	v_fma_f32 v10, v10, v11, 1.0
	v_and_b32_e32 v11, 1, v23
	v_cmp_eq_u32_e64 s[2:3], 0, v11
	v_lshlrev_b32_e32 v11, 30, v23
	v_pk_mul_f32 v[12:13], v[14:15], v[16:17] op_sel_hi:[1,0]
	v_cndmask_b32_e64 v10, -v24, v10, s[2:3]
	v_bitop3_b32 v10, v11, v10, s46 bitop3:0x6c
	v_cndmask_b32_e32 v10, v9, v10, vcc
	v_pk_mul_f32 v[22:23], v[14:15], v[2:3] op_sel_hi:[1,0]
	v_pk_mul_f32 v[28:29], v[12:13], v[10:11] op_sel_hi:[1,0]
	v_pk_fma_f32 v[30:31], v[12:13], v[10:11], v[22:23] op_sel:[0,0,1] op_sel_hi:[1,0,0]
	v_mul_f32_e32 v18, v4, v10
	s_add_i32 s2, s48, 32
	v_sub_f32_e32 v19, v28, v23
	v_mov_b32_e32 v20, v31
	s_waitcnt vmcnt(2)
	scratch_store_dwordx4 off, v[18:21], s2
	v_mul_f32_e32 v22, v4, v2
	s_add_i32 s3, s2, 16
	v_mov_b32_e32 v20, v15
	v_mov_b32_e32 v21, v14
	v_pk_mul_f32 v[10:11], v[20:21], v[10:11] op_sel_hi:[1,0]
	v_pk_mul_f32 v[18:19], v[12:13], v[2:3] op_sel_hi:[1,0]
	v_pk_fma_f32 v[12:13], v[12:13], v[2:3], v[10:11] op_sel_hi:[1,0,1] neg_lo:[0,0,1] neg_hi:[0,0,1]
	v_add_f32_e32 v23, v18, v10
	v_mov_b32_e32 v24, v13
	v_pk_mul_f32 v[10:11], v[14:15], v[4:5] op_sel_hi:[1,0]
	s_waitcnt vmcnt(2)
	scratch_store_dwordx4 off, v[22:25], s3
	s_add_i32 s2, s2, 32
	v_mov_b32_e32 v26, v11
	v_xor_b32_e32 v24, 0x80000000, v16
	v_mov_b32_e32 v25, v10
	s_waitcnt vmcnt(2)
	scratch_store_dwordx4 off, v[24:27], s2
	scratch_store_dword off, v3, s34
	s_add_i32 s48, s48, 48
	s_add_i32 s34, s34, 4
	s_cmpk_lg_i32 s48, 0x180
	s_cbranch_scc0 .LBB3_26
.LBB3_2:                                ; =>This Inner Loop Header: Depth=1
	v_lshl_add_u64 v[10:11], s[20:21], 0, v[0:1]
	global_load_dword v10, v[10:11], off
                                        ; implicit-def: $vgpr12
                                        ; implicit-def: $vgpr13
	s_waitcnt vmcnt(0)
	v_and_b32_e32 v11, 0x7fffffff, v10
	v_lshrrev_b32_e32 v2, 23, v11
	v_and_b32_e32 v4, 0x7fffff, v11
	v_cmp_nlt_f32_e64 s[10:11], |v10|, s35
	v_add_u32_e32 v16, 0xffffff88, v2
	v_or_b32_e32 v4, 0x800000, v4
	s_and_saveexec_b64 s[2:3], s[10:11]
	s_xor_b64 s[14:15], exec, s[2:3]
	s_cbranch_execz .LBB3_4
; %bb.3:                                ;   in Loop: Header=BB3_2 Depth=1
	v_cmp_lt_u32_e32 vcc, 63, v16
	s_nop 1
	v_cndmask_b32_e32 v2, 0, v7, vcc
	v_add_u32_e32 v2, v2, v16
	v_cmp_lt_u32_e64 s[2:3], 31, v2
	s_nop 1
	v_cndmask_b32_e64 v12, 0, v8, s[2:3]
	v_add_u32_e32 v2, v12, v2
	v_cmp_lt_u32_e64 s[4:5], 31, v2
	s_nop 1
	v_cndmask_b32_e64 v12, 0, v8, s[4:5]
	v_add_u32_e32 v17, v12, v2
	v_mad_u64_u32 v[12:13], s[6:7], v4, s36, 0
	v_mov_b32_e32 v2, v13
	v_mad_u64_u32 v[14:15], s[6:7], v4, s37, v[2:3]
	v_mov_b32_e32 v2, v15
	;; [unrolled: 2-line block ×6, first 2 shown]
	v_mad_u64_u32 v[26:27], s[6:7], v4, s42, v[2:3]
	v_cndmask_b32_e32 v13, v24, v20, vcc
	v_cndmask_b32_e32 v2, v26, v22, vcc
	;; [unrolled: 1-line block ×3, first 2 shown]
	v_cndmask_b32_e64 v15, v2, v13, s[2:3]
	v_cndmask_b32_e64 v2, v19, v2, s[2:3]
	v_cndmask_b32_e32 v19, v22, v18, vcc
	v_cndmask_b32_e64 v13, v13, v19, s[2:3]
	v_cndmask_b32_e32 v14, v20, v14, vcc
	v_cndmask_b32_e64 v2, v2, v15, s[4:5]
	v_cndmask_b32_e64 v15, v15, v13, s[4:5]
	v_sub_u32_e32 v21, 32, v17
	v_cmp_eq_u32_e64 s[6:7], 0, v17
	v_cndmask_b32_e64 v17, v19, v14, s[2:3]
	v_alignbit_b32 v22, v2, v15, v21
	v_cndmask_b32_e64 v13, v13, v17, s[4:5]
	v_cndmask_b32_e32 v12, v18, v12, vcc
	v_cndmask_b32_e64 v2, v22, v2, s[6:7]
	v_alignbit_b32 v19, v15, v13, v21
	v_cndmask_b32_e64 v12, v14, v12, s[2:3]
	v_cndmask_b32_e64 v15, v19, v15, s[6:7]
	v_bfe_u32 v22, v2, 29, 1
	v_cndmask_b32_e64 v12, v17, v12, s[4:5]
	v_alignbit_b32 v19, v2, v15, 30
	v_sub_u32_e32 v23, 0, v22
	v_alignbit_b32 v14, v13, v12, v21
	v_xor_b32_e32 v19, v19, v23
	v_cndmask_b32_e64 v13, v14, v13, s[6:7]
	v_alignbit_b32 v14, v15, v13, 30
	v_ffbh_u32_e32 v15, v19
	v_min_u32_e32 v15, 32, v15
	v_alignbit_b32 v12, v13, v12, 30
	v_xor_b32_e32 v14, v14, v23
	v_sub_u32_e32 v17, 31, v15
	v_xor_b32_e32 v12, v12, v23
	v_alignbit_b32 v18, v19, v14, v17
	v_alignbit_b32 v12, v14, v12, v17
	;; [unrolled: 1-line block ×3, first 2 shown]
	v_ffbh_u32_e32 v14, v13
	v_min_u32_e32 v14, 32, v14
	v_lshrrev_b32_e32 v20, 29, v2
	v_not_b32_e32 v17, v14
	v_alignbit_b32 v12, v13, v12, v17
	v_lshlrev_b32_e32 v13, 31, v20
	v_or_b32_e32 v17, 0x33000000, v13
	v_add_lshl_u32 v14, v14, v15, 23
	v_lshrrev_b32_e32 v12, 9, v12
	v_sub_u32_e32 v14, v17, v14
	v_or_b32_e32 v13, 0.5, v13
	v_lshlrev_b32_e32 v15, 23, v15
	v_or_b32_e32 v12, v14, v12
	v_lshrrev_b32_e32 v14, 9, v18
	v_sub_u32_e32 v13, v13, v15
	v_or_b32_e32 v13, v14, v13
	v_mul_f32_e32 v14, 0x3fc90fda, v13
	v_fma_f32 v15, v13, s43, -v14
	v_fmac_f32_e32 v15, 0x33a22168, v13
	v_fmac_f32_e32 v15, 0x3fc90fda, v12
	v_lshrrev_b32_e32 v2, 30, v2
	v_add_f32_e32 v13, v14, v15
	v_add_u32_e32 v12, v22, v2
.LBB3_4:                                ;   in Loop: Header=BB3_2 Depth=1
	s_or_saveexec_b64 s[2:3], s[14:15]
	v_mul_f32_e64 v2, |v10|, s44
	v_rndne_f32_e32 v2, v2
	s_xor_b64 exec, exec, s[2:3]
; %bb.5:                                ;   in Loop: Header=BB3_2 Depth=1
	v_cvt_i32_f32_e32 v12, v2
	v_fma_f32 v13, v2, s45, |v10|
	v_fmac_f32_e32 v13, 0xb3a22168, v2
	v_fmac_f32_e32 v13, 0xa7c234c4, v2
; %bb.6:                                ;   in Loop: Header=BB3_2 Depth=1
	s_or_b64 exec, exec, s[2:3]
                                        ; implicit-def: $vgpr14
                                        ; implicit-def: $vgpr15
	s_and_saveexec_b64 s[2:3], s[10:11]
	s_xor_b64 s[10:11], exec, s[2:3]
	s_cbranch_execz .LBB3_8
; %bb.7:                                ;   in Loop: Header=BB3_2 Depth=1
	v_cmp_lt_u32_e32 vcc, 63, v16
	s_nop 1
	v_cndmask_b32_e32 v2, 0, v7, vcc
	v_add_u32_e32 v2, v2, v16
	v_cmp_lt_u32_e64 s[2:3], 31, v2
	s_nop 1
	v_cndmask_b32_e64 v14, 0, v8, s[2:3]
	v_add_u32_e32 v2, v14, v2
	v_cmp_lt_u32_e64 s[4:5], 31, v2
	s_nop 1
	v_cndmask_b32_e64 v14, 0, v8, s[4:5]
	v_add_u32_e32 v28, v14, v2
	v_mad_u64_u32 v[14:15], s[6:7], v4, s36, 0
	v_mov_b32_e32 v2, v15
	v_mad_u64_u32 v[16:17], s[6:7], v4, s37, v[2:3]
	v_mov_b32_e32 v2, v17
	;; [unrolled: 2-line block ×6, first 2 shown]
	v_mad_u64_u32 v[26:27], s[6:7], v4, s42, v[2:3]
	v_cndmask_b32_e32 v15, v24, v20, vcc
	v_cndmask_b32_e32 v2, v26, v22, vcc
	;; [unrolled: 1-line block ×3, first 2 shown]
	v_cndmask_b32_e64 v4, v2, v15, s[2:3]
	v_cndmask_b32_e64 v2, v17, v2, s[2:3]
	v_cndmask_b32_e32 v17, v22, v18, vcc
	v_cndmask_b32_e64 v15, v15, v17, s[2:3]
	v_cndmask_b32_e32 v16, v20, v16, vcc
	v_cndmask_b32_e64 v2, v2, v4, s[4:5]
	v_cndmask_b32_e64 v4, v4, v15, s[4:5]
	v_sub_u32_e32 v19, 32, v28
	v_cndmask_b32_e64 v17, v17, v16, s[2:3]
	v_alignbit_b32 v21, v2, v4, v19
	v_cmp_eq_u32_e64 s[6:7], 0, v28
	v_cndmask_b32_e64 v15, v15, v17, s[4:5]
	v_alignbit_b32 v20, v4, v15, v19
	v_cndmask_b32_e64 v2, v21, v2, s[6:7]
	v_cndmask_b32_e32 v14, v18, v14, vcc
	v_cndmask_b32_e64 v4, v20, v4, s[6:7]
	v_bfe_u32 v22, v2, 29, 1
	v_cndmask_b32_e64 v14, v16, v14, s[2:3]
	v_alignbit_b32 v20, v2, v4, 30
	v_sub_u32_e32 v23, 0, v22
	v_cndmask_b32_e64 v14, v17, v14, s[4:5]
	v_xor_b32_e32 v20, v20, v23
	v_alignbit_b32 v16, v15, v14, v19
	v_cndmask_b32_e64 v15, v16, v15, s[6:7]
	v_ffbh_u32_e32 v16, v20
	v_alignbit_b32 v4, v4, v15, 30
	v_min_u32_e32 v16, 32, v16
	v_alignbit_b32 v14, v15, v14, 30
	v_xor_b32_e32 v4, v4, v23
	v_sub_u32_e32 v17, 31, v16
	v_xor_b32_e32 v14, v14, v23
	v_alignbit_b32 v18, v20, v4, v17
	v_alignbit_b32 v4, v4, v14, v17
	;; [unrolled: 1-line block ×3, first 2 shown]
	v_ffbh_u32_e32 v15, v14
	v_min_u32_e32 v15, 32, v15
	v_lshrrev_b32_e32 v21, 29, v2
	v_not_b32_e32 v17, v15
	v_alignbit_b32 v4, v14, v4, v17
	v_lshlrev_b32_e32 v14, 31, v21
	v_or_b32_e32 v17, 0x33000000, v14
	v_add_lshl_u32 v15, v15, v16, 23
	v_lshrrev_b32_e32 v4, 9, v4
	v_sub_u32_e32 v15, v17, v15
	v_or_b32_e32 v14, 0.5, v14
	v_lshlrev_b32_e32 v16, 23, v16
	v_or_b32_e32 v4, v15, v4
	v_lshrrev_b32_e32 v15, 9, v18
	v_sub_u32_e32 v14, v14, v16
	v_or_b32_e32 v14, v15, v14
	v_mul_f32_e32 v15, 0x3fc90fda, v14
	v_fma_f32 v16, v14, s43, -v15
	v_fmac_f32_e32 v16, 0x33a22168, v14
	v_fmac_f32_e32 v16, 0x3fc90fda, v4
	v_lshrrev_b32_e32 v2, 30, v2
	v_add_f32_e32 v15, v15, v16
	v_add_u32_e32 v14, v22, v2
                                        ; implicit-def: $vgpr2
	s_andn2_saveexec_b64 s[2:3], s[10:11]
	s_cbranch_execnz .LBB3_9
	s_branch .LBB3_10
.LBB3_8:                                ;   in Loop: Header=BB3_2 Depth=1
	s_andn2_saveexec_b64 s[2:3], s[10:11]
.LBB3_9:                                ;   in Loop: Header=BB3_2 Depth=1
	v_cvt_i32_f32_e32 v14, v2
	v_fma_f32 v15, v2, s45, |v10|
	v_fmac_f32_e32 v15, 0xb3a22168, v2
	v_fmac_f32_e32 v15, 0xa7c234c4, v2
.LBB3_10:                               ;   in Loop: Header=BB3_2 Depth=1
	s_or_b64 exec, exec, s[2:3]
	v_lshl_add_u64 v[16:17], s[22:23], 0, v[0:1]
	global_load_dword v16, v[16:17], off
                                        ; implicit-def: $vgpr18
                                        ; implicit-def: $vgpr19
	s_waitcnt vmcnt(0)
	v_and_b32_e32 v17, 0x7fffffff, v16
	v_lshrrev_b32_e32 v2, 23, v17
	v_and_b32_e32 v4, 0x7fffff, v17
	v_cmp_nlt_f32_e64 s[10:11], |v16|, s35
	v_add_u32_e32 v22, 0xffffff88, v2
	v_or_b32_e32 v21, 0x800000, v4
	s_and_saveexec_b64 s[2:3], s[10:11]
	s_xor_b64 s[14:15], exec, s[2:3]
	s_cbranch_execz .LBB3_12
; %bb.11:                               ;   in Loop: Header=BB3_2 Depth=1
	v_cmp_lt_u32_e32 vcc, 63, v22
	v_mad_u64_u32 v[18:19], s[6:7], v21, s36, 0
	s_nop 0
	v_cndmask_b32_e32 v2, 0, v7, vcc
	v_add_u32_e32 v2, v2, v22
	v_cmp_lt_u32_e64 s[2:3], 31, v2
	s_nop 1
	v_cndmask_b32_e64 v4, 0, v8, s[2:3]
	v_add_u32_e32 v2, v4, v2
	v_cmp_lt_u32_e64 s[4:5], 31, v2
	s_nop 1
	v_cndmask_b32_e64 v4, 0, v8, s[4:5]
	v_add_u32_e32 v4, v4, v2
	v_mov_b32_e32 v2, v19
	v_mad_u64_u32 v[24:25], s[6:7], v21, s37, v[2:3]
	v_mov_b32_e32 v2, v25
	v_mad_u64_u32 v[26:27], s[6:7], v21, s38, v[2:3]
	;; [unrolled: 2-line block ×6, first 2 shown]
	v_cndmask_b32_e32 v19, v32, v28, vcc
	v_cndmask_b32_e32 v2, v34, v30, vcc
	;; [unrolled: 1-line block ×3, first 2 shown]
	v_cndmask_b32_e64 v20, v2, v19, s[2:3]
	v_cndmask_b32_e64 v2, v23, v2, s[2:3]
	v_cndmask_b32_e32 v23, v30, v26, vcc
	v_cndmask_b32_e64 v19, v19, v23, s[2:3]
	v_sub_u32_e32 v25, 32, v4
	v_cmp_eq_u32_e64 s[6:7], 0, v4
	v_cndmask_b32_e32 v4, v28, v24, vcc
	v_cndmask_b32_e64 v2, v2, v20, s[4:5]
	v_cndmask_b32_e64 v20, v20, v19, s[4:5]
	;; [unrolled: 1-line block ×3, first 2 shown]
	v_alignbit_b32 v27, v2, v20, v25
	v_cndmask_b32_e64 v19, v19, v23, s[4:5]
	v_cndmask_b32_e32 v18, v26, v18, vcc
	v_cndmask_b32_e64 v2, v27, v2, s[6:7]
	v_alignbit_b32 v24, v20, v19, v25
	v_cndmask_b32_e64 v4, v4, v18, s[2:3]
	v_cndmask_b32_e64 v20, v24, v20, s[6:7]
	v_bfe_u32 v28, v2, 29, 1
	v_cndmask_b32_e64 v4, v23, v4, s[4:5]
	v_alignbit_b32 v24, v2, v20, 30
	v_sub_u32_e32 v29, 0, v28
	v_alignbit_b32 v18, v19, v4, v25
	v_xor_b32_e32 v24, v24, v29
	v_cndmask_b32_e64 v18, v18, v19, s[6:7]
	v_alignbit_b32 v19, v20, v18, 30
	v_ffbh_u32_e32 v20, v24
	v_min_u32_e32 v20, 32, v20
	v_alignbit_b32 v4, v18, v4, 30
	v_xor_b32_e32 v19, v19, v29
	v_sub_u32_e32 v23, 31, v20
	v_xor_b32_e32 v4, v4, v29
	v_alignbit_b32 v24, v24, v19, v23
	v_alignbit_b32 v4, v19, v4, v23
	;; [unrolled: 1-line block ×3, first 2 shown]
	v_ffbh_u32_e32 v19, v18
	v_min_u32_e32 v19, 32, v19
	v_lshrrev_b32_e32 v27, 29, v2
	v_not_b32_e32 v23, v19
	v_alignbit_b32 v4, v18, v4, v23
	v_lshlrev_b32_e32 v18, 31, v27
	v_or_b32_e32 v23, 0x33000000, v18
	v_add_lshl_u32 v19, v19, v20, 23
	v_lshrrev_b32_e32 v4, 9, v4
	v_sub_u32_e32 v19, v23, v19
	v_or_b32_e32 v18, 0.5, v18
	v_lshlrev_b32_e32 v20, 23, v20
	v_or_b32_e32 v4, v19, v4
	v_lshrrev_b32_e32 v19, 9, v24
	v_sub_u32_e32 v18, v18, v20
	v_or_b32_e32 v18, v19, v18
	v_mul_f32_e32 v19, 0x3fc90fda, v18
	v_fma_f32 v20, v18, s43, -v19
	v_fmac_f32_e32 v20, 0x33a22168, v18
	v_fmac_f32_e32 v20, 0x3fc90fda, v4
	v_lshrrev_b32_e32 v2, 30, v2
	v_add_f32_e32 v19, v19, v20
	v_add_u32_e32 v18, v28, v2
.LBB3_12:                               ;   in Loop: Header=BB3_2 Depth=1
	s_or_saveexec_b64 s[2:3], s[14:15]
	v_mul_f32_e64 v2, |v16|, s44
	v_rndne_f32_e32 v2, v2
	s_xor_b64 exec, exec, s[2:3]
; %bb.13:                               ;   in Loop: Header=BB3_2 Depth=1
	v_cvt_i32_f32_e32 v18, v2
	v_fma_f32 v19, v2, s45, |v16|
	v_fmac_f32_e32 v19, 0xb3a22168, v2
	v_fmac_f32_e32 v19, 0xa7c234c4, v2
; %bb.14:                               ;   in Loop: Header=BB3_2 Depth=1
	s_or_b64 exec, exec, s[2:3]
                                        ; implicit-def: $vgpr4
                                        ; implicit-def: $vgpr20
	s_and_saveexec_b64 s[2:3], s[10:11]
	s_xor_b64 s[10:11], exec, s[2:3]
	s_cbranch_execz .LBB3_16
; %bb.15:                               ;   in Loop: Header=BB3_2 Depth=1
	v_cmp_lt_u32_e32 vcc, 63, v22
	s_nop 1
	v_cndmask_b32_e32 v2, 0, v7, vcc
	v_add_u32_e32 v2, v2, v22
	v_cmp_lt_u32_e64 s[2:3], 31, v2
	v_mad_u64_u32 v[22:23], s[6:7], v21, s36, 0
	s_nop 0
	v_cndmask_b32_e64 v4, 0, v8, s[2:3]
	v_add_u32_e32 v2, v4, v2
	v_cmp_lt_u32_e64 s[4:5], 31, v2
	s_nop 1
	v_cndmask_b32_e64 v4, 0, v8, s[4:5]
	v_add_u32_e32 v4, v4, v2
	v_mov_b32_e32 v2, v23
	v_mad_u64_u32 v[24:25], s[6:7], v21, s37, v[2:3]
	v_mov_b32_e32 v2, v25
	v_mad_u64_u32 v[26:27], s[6:7], v21, s38, v[2:3]
	;; [unrolled: 2-line block ×6, first 2 shown]
	v_cndmask_b32_e32 v23, v32, v28, vcc
	v_cndmask_b32_e32 v2, v20, v30, vcc
	;; [unrolled: 1-line block ×3, first 2 shown]
	v_cndmask_b32_e64 v20, v2, v23, s[2:3]
	v_cndmask_b32_e64 v2, v21, v2, s[2:3]
	v_cndmask_b32_e32 v21, v30, v26, vcc
	v_cndmask_b32_e64 v23, v23, v21, s[2:3]
	v_sub_u32_e32 v25, 32, v4
	v_cmp_eq_u32_e64 s[6:7], 0, v4
	v_cndmask_b32_e32 v4, v28, v24, vcc
	v_cndmask_b32_e64 v2, v2, v20, s[4:5]
	v_cndmask_b32_e64 v20, v20, v23, s[4:5]
	;; [unrolled: 1-line block ×3, first 2 shown]
	v_alignbit_b32 v27, v2, v20, v25
	v_cndmask_b32_e64 v23, v23, v21, s[4:5]
	v_cndmask_b32_e64 v2, v27, v2, s[6:7]
	v_alignbit_b32 v24, v20, v23, v25
	v_cndmask_b32_e32 v22, v26, v22, vcc
	v_cndmask_b32_e64 v20, v24, v20, s[6:7]
	v_bfe_u32 v28, v2, 29, 1
	v_cndmask_b32_e64 v4, v4, v22, s[2:3]
	v_alignbit_b32 v24, v2, v20, 30
	v_sub_u32_e32 v29, 0, v28
	v_cndmask_b32_e64 v4, v21, v4, s[4:5]
	v_xor_b32_e32 v24, v24, v29
	v_alignbit_b32 v21, v23, v4, v25
	v_cndmask_b32_e64 v21, v21, v23, s[6:7]
	v_ffbh_u32_e32 v22, v24
	v_alignbit_b32 v20, v20, v21, 30
	v_min_u32_e32 v22, 32, v22
	v_alignbit_b32 v4, v21, v4, 30
	v_xor_b32_e32 v20, v20, v29
	v_sub_u32_e32 v23, 31, v22
	v_xor_b32_e32 v4, v4, v29
	v_alignbit_b32 v24, v24, v20, v23
	v_alignbit_b32 v4, v20, v4, v23
	v_alignbit_b32 v20, v24, v4, 9
	v_ffbh_u32_e32 v21, v20
	v_min_u32_e32 v21, 32, v21
	v_lshrrev_b32_e32 v27, 29, v2
	v_not_b32_e32 v23, v21
	v_alignbit_b32 v4, v20, v4, v23
	v_lshlrev_b32_e32 v20, 31, v27
	v_or_b32_e32 v23, 0x33000000, v20
	v_add_lshl_u32 v21, v21, v22, 23
	v_lshrrev_b32_e32 v4, 9, v4
	v_sub_u32_e32 v21, v23, v21
	v_or_b32_e32 v20, 0.5, v20
	v_lshlrev_b32_e32 v22, 23, v22
	v_or_b32_e32 v4, v21, v4
	v_lshrrev_b32_e32 v21, 9, v24
	v_sub_u32_e32 v20, v20, v22
	v_or_b32_e32 v20, v21, v20
	v_mul_f32_e32 v21, 0x3fc90fda, v20
	v_fma_f32 v22, v20, s43, -v21
	v_fmac_f32_e32 v22, 0x33a22168, v20
	v_fmac_f32_e32 v22, 0x3fc90fda, v4
	v_lshrrev_b32_e32 v2, 30, v2
	v_add_f32_e32 v20, v21, v22
	v_add_u32_e32 v4, v28, v2
                                        ; implicit-def: $vgpr2
	s_andn2_saveexec_b64 s[2:3], s[10:11]
	s_cbranch_execnz .LBB3_17
	s_branch .LBB3_18
.LBB3_16:                               ;   in Loop: Header=BB3_2 Depth=1
	s_andn2_saveexec_b64 s[2:3], s[10:11]
.LBB3_17:                               ;   in Loop: Header=BB3_2 Depth=1
	v_cvt_i32_f32_e32 v4, v2
	v_fma_f32 v20, v2, s45, |v16|
	v_fmac_f32_e32 v20, 0xb3a22168, v2
	v_fmac_f32_e32 v20, 0xa7c234c4, v2
.LBB3_18:                               ;   in Loop: Header=BB3_2 Depth=1
	s_or_b64 exec, exec, s[2:3]
	v_lshl_add_u64 v[22:23], s[24:25], 0, v[0:1]
	global_load_dword v21, v[22:23], off
                                        ; implicit-def: $vgpr25
                                        ; implicit-def: $vgpr26
	s_waitcnt vmcnt(0)
	v_and_b32_e32 v22, 0x7fffffff, v21
	v_lshrrev_b32_e32 v2, 23, v22
	v_and_b32_e32 v23, 0x7fffff, v22
	v_cmp_nlt_f32_e64 s[10:11], |v21|, s35
	v_add_u32_e32 v28, 0xffffff88, v2
	v_or_b32_e32 v27, 0x800000, v23
	s_and_saveexec_b64 s[2:3], s[10:11]
	s_xor_b64 s[14:15], exec, s[2:3]
	s_cbranch_execz .LBB3_20
; %bb.19:                               ;   in Loop: Header=BB3_2 Depth=1
	v_cmp_lt_u32_e32 vcc, 63, v28
	v_mad_u64_u32 v[24:25], s[6:7], v27, s36, 0
	s_nop 0
	v_cndmask_b32_e32 v2, 0, v7, vcc
	v_add_u32_e32 v2, v2, v28
	v_cmp_lt_u32_e64 s[2:3], 31, v2
	s_nop 1
	v_cndmask_b32_e64 v23, 0, v8, s[2:3]
	v_add_u32_e32 v2, v23, v2
	v_cmp_lt_u32_e64 s[4:5], 31, v2
	s_nop 1
	v_cndmask_b32_e64 v23, 0, v8, s[4:5]
	v_add_u32_e32 v23, v23, v2
	v_mov_b32_e32 v2, v25
	v_mad_u64_u32 v[30:31], s[6:7], v27, s37, v[2:3]
	v_mov_b32_e32 v2, v31
	v_mad_u64_u32 v[32:33], s[6:7], v27, s38, v[2:3]
	;; [unrolled: 2-line block ×6, first 2 shown]
	v_cndmask_b32_e32 v25, v38, v34, vcc
	v_cndmask_b32_e32 v2, v40, v36, vcc
	;; [unrolled: 1-line block ×3, first 2 shown]
	v_cndmask_b32_e64 v26, v2, v25, s[2:3]
	v_cndmask_b32_e64 v2, v29, v2, s[2:3]
	v_cndmask_b32_e32 v29, v36, v32, vcc
	v_cndmask_b32_e64 v25, v25, v29, s[2:3]
	v_sub_u32_e32 v31, 32, v23
	v_cmp_eq_u32_e64 s[6:7], 0, v23
	v_cndmask_b32_e32 v23, v34, v30, vcc
	v_cndmask_b32_e64 v2, v2, v26, s[4:5]
	v_cndmask_b32_e64 v26, v26, v25, s[4:5]
	;; [unrolled: 1-line block ×3, first 2 shown]
	v_alignbit_b32 v33, v2, v26, v31
	v_cndmask_b32_e64 v25, v25, v29, s[4:5]
	v_cndmask_b32_e32 v24, v32, v24, vcc
	v_cndmask_b32_e64 v2, v33, v2, s[6:7]
	v_alignbit_b32 v30, v26, v25, v31
	v_cndmask_b32_e64 v23, v23, v24, s[2:3]
	v_cndmask_b32_e64 v26, v30, v26, s[6:7]
	v_bfe_u32 v34, v2, 29, 1
	v_cndmask_b32_e64 v23, v29, v23, s[4:5]
	v_alignbit_b32 v30, v2, v26, 30
	v_sub_u32_e32 v35, 0, v34
	v_alignbit_b32 v24, v25, v23, v31
	v_xor_b32_e32 v30, v30, v35
	v_cndmask_b32_e64 v24, v24, v25, s[6:7]
	v_alignbit_b32 v25, v26, v24, 30
	v_ffbh_u32_e32 v26, v30
	v_min_u32_e32 v26, 32, v26
	v_alignbit_b32 v23, v24, v23, 30
	v_xor_b32_e32 v25, v25, v35
	v_sub_u32_e32 v29, 31, v26
	v_xor_b32_e32 v23, v23, v35
	v_alignbit_b32 v30, v30, v25, v29
	v_alignbit_b32 v23, v25, v23, v29
	;; [unrolled: 1-line block ×3, first 2 shown]
	v_ffbh_u32_e32 v25, v24
	v_min_u32_e32 v25, 32, v25
	v_lshrrev_b32_e32 v33, 29, v2
	v_not_b32_e32 v29, v25
	v_alignbit_b32 v23, v24, v23, v29
	v_lshlrev_b32_e32 v24, 31, v33
	v_or_b32_e32 v29, 0x33000000, v24
	v_add_lshl_u32 v25, v25, v26, 23
	v_lshrrev_b32_e32 v23, 9, v23
	v_sub_u32_e32 v25, v29, v25
	v_or_b32_e32 v24, 0.5, v24
	v_lshlrev_b32_e32 v26, 23, v26
	v_or_b32_e32 v23, v25, v23
	v_lshrrev_b32_e32 v25, 9, v30
	v_sub_u32_e32 v24, v24, v26
	v_or_b32_e32 v24, v25, v24
	v_mul_f32_e32 v25, 0x3fc90fda, v24
	v_fma_f32 v26, v24, s43, -v25
	v_fmac_f32_e32 v26, 0x33a22168, v24
	v_fmac_f32_e32 v26, 0x3fc90fda, v23
	v_lshrrev_b32_e32 v2, 30, v2
	v_add_f32_e32 v26, v25, v26
	v_add_u32_e32 v25, v34, v2
.LBB3_20:                               ;   in Loop: Header=BB3_2 Depth=1
	s_or_saveexec_b64 s[2:3], s[14:15]
	v_mul_f32_e64 v2, |v21|, s44
	v_rndne_f32_e32 v2, v2
	s_xor_b64 exec, exec, s[2:3]
; %bb.21:                               ;   in Loop: Header=BB3_2 Depth=1
	v_cvt_i32_f32_e32 v25, v2
	v_fma_f32 v26, v2, s45, |v21|
	v_fmac_f32_e32 v26, 0xb3a22168, v2
	v_fmac_f32_e32 v26, 0xa7c234c4, v2
; %bb.22:                               ;   in Loop: Header=BB3_2 Depth=1
	s_or_b64 exec, exec, s[2:3]
                                        ; implicit-def: $vgpr23
                                        ; implicit-def: $vgpr24
	s_and_saveexec_b64 s[2:3], s[10:11]
	s_xor_b64 s[10:11], exec, s[2:3]
	s_cbranch_execz .LBB3_24
; %bb.23:                               ;   in Loop: Header=BB3_2 Depth=1
	v_cmp_lt_u32_e32 vcc, 63, v28
	s_nop 1
	v_cndmask_b32_e32 v2, 0, v7, vcc
	v_add_u32_e32 v2, v2, v28
	v_cmp_lt_u32_e64 s[2:3], 31, v2
	v_mad_u64_u32 v[28:29], s[6:7], v27, s36, 0
	s_nop 0
	v_cndmask_b32_e64 v23, 0, v8, s[2:3]
	v_add_u32_e32 v2, v23, v2
	v_cmp_lt_u32_e64 s[4:5], 31, v2
	s_nop 1
	v_cndmask_b32_e64 v23, 0, v8, s[4:5]
	v_add_u32_e32 v23, v23, v2
	v_mov_b32_e32 v2, v29
	v_mad_u64_u32 v[30:31], s[6:7], v27, s37, v[2:3]
	v_mov_b32_e32 v2, v31
	v_mad_u64_u32 v[32:33], s[6:7], v27, s38, v[2:3]
	;; [unrolled: 2-line block ×6, first 2 shown]
	v_cndmask_b32_e32 v24, v38, v34, vcc
	v_cndmask_b32_e32 v2, v40, v36, vcc
	v_cndmask_b32_e32 v29, v41, v38, vcc
	v_cndmask_b32_e64 v27, v2, v24, s[2:3]
	v_cndmask_b32_e64 v2, v29, v2, s[2:3]
	v_cndmask_b32_e32 v29, v36, v32, vcc
	v_cndmask_b32_e64 v24, v24, v29, s[2:3]
	v_sub_u32_e32 v31, 32, v23
	v_cmp_eq_u32_e64 s[6:7], 0, v23
	v_cndmask_b32_e32 v23, v34, v30, vcc
	v_cndmask_b32_e64 v2, v2, v27, s[4:5]
	v_cndmask_b32_e64 v27, v27, v24, s[4:5]
	;; [unrolled: 1-line block ×3, first 2 shown]
	v_alignbit_b32 v33, v2, v27, v31
	v_cndmask_b32_e64 v24, v24, v29, s[4:5]
	v_cndmask_b32_e64 v2, v33, v2, s[6:7]
	v_alignbit_b32 v30, v27, v24, v31
	v_cndmask_b32_e32 v28, v32, v28, vcc
	v_cndmask_b32_e64 v27, v30, v27, s[6:7]
	v_bfe_u32 v34, v2, 29, 1
	v_cndmask_b32_e64 v23, v23, v28, s[2:3]
	v_alignbit_b32 v30, v2, v27, 30
	v_sub_u32_e32 v35, 0, v34
	v_cndmask_b32_e64 v23, v29, v23, s[4:5]
	v_xor_b32_e32 v30, v30, v35
	v_alignbit_b32 v28, v24, v23, v31
	v_cndmask_b32_e64 v24, v28, v24, s[6:7]
	v_ffbh_u32_e32 v28, v30
	v_alignbit_b32 v27, v27, v24, 30
	v_min_u32_e32 v28, 32, v28
	v_alignbit_b32 v23, v24, v23, 30
	v_xor_b32_e32 v27, v27, v35
	v_sub_u32_e32 v29, 31, v28
	v_xor_b32_e32 v23, v23, v35
	v_alignbit_b32 v30, v30, v27, v29
	v_alignbit_b32 v23, v27, v23, v29
	;; [unrolled: 1-line block ×3, first 2 shown]
	v_ffbh_u32_e32 v27, v24
	v_min_u32_e32 v27, 32, v27
	v_lshrrev_b32_e32 v33, 29, v2
	v_not_b32_e32 v29, v27
	v_alignbit_b32 v23, v24, v23, v29
	v_lshlrev_b32_e32 v24, 31, v33
	v_or_b32_e32 v29, 0x33000000, v24
	v_add_lshl_u32 v27, v27, v28, 23
	v_lshrrev_b32_e32 v23, 9, v23
	v_sub_u32_e32 v27, v29, v27
	v_or_b32_e32 v24, 0.5, v24
	v_lshlrev_b32_e32 v28, 23, v28
	v_or_b32_e32 v23, v27, v23
	v_lshrrev_b32_e32 v27, 9, v30
	v_sub_u32_e32 v24, v24, v28
	v_or_b32_e32 v24, v27, v24
	v_mul_f32_e32 v27, 0x3fc90fda, v24
	v_fma_f32 v28, v24, s43, -v27
	v_fmac_f32_e32 v28, 0x33a22168, v24
	v_fmac_f32_e32 v28, 0x3fc90fda, v23
	v_lshrrev_b32_e32 v2, 30, v2
	v_add_f32_e32 v24, v27, v28
	v_add_u32_e32 v23, v34, v2
                                        ; implicit-def: $vgpr2
	s_andn2_saveexec_b64 s[2:3], s[10:11]
	s_cbranch_execz .LBB3_1
	s_branch .LBB3_25
.LBB3_24:                               ;   in Loop: Header=BB3_2 Depth=1
	s_andn2_saveexec_b64 s[2:3], s[10:11]
	s_cbranch_execz .LBB3_1
.LBB3_25:                               ;   in Loop: Header=BB3_2 Depth=1
	v_cvt_i32_f32_e32 v23, v2
	v_fma_f32 v24, v2, s45, |v21|
	v_fmac_f32_e32 v24, 0xb3a22168, v2
	v_fmac_f32_e32 v24, 0xa7c234c4, v2
	s_branch .LBB3_1
.LBB3_26:
	scratch_load_dwordx4 v[0:3], off, off offset:368
	scratch_load_dwordx4 v[4:7], off, off offset:400
	;; [unrolled: 1-line block ×16, first 2 shown]
	s_load_dwordx2 s[2:3], s[0:1], 0x0
	s_load_dwordx4 s[20:23], s[0:1], 0x48
	scratch_load_dwordx4 v[64:67], off, off offset:48
	scratch_load_dwordx4 v[68:71], off, off offset:96
	;; [unrolled: 1-line block ×8, first 2 shown]
	s_mov_b32 s25, 0
	s_movk_i32 s27, 0x46
	s_waitcnt lgkmcnt(0)
	s_max_i32 s38, s3, 1
	s_max_i32 s39, s2, 1
	s_add_u32 s28, s16, 8
	s_movk_i32 s36, 0x45
	s_mov_b32 s37, 0xf800000
	s_mov_b32 s26, 0x42340000
	s_mov_b32 s24, s25
	s_addc_u32 s29, s17, 0
	v_mov_b32_e32 v99, 0
	v_mov_b32_e32 v105, 0x260
	;; [unrolled: 1-line block ×3, first 2 shown]
	s_waitcnt vmcnt(23)
	v_mov_b32_e32 v96, v3
	s_waitcnt vmcnt(22)
	v_mov_b32_e32 v97, v7
	scratch_store_dwordx2 off, v[96:97], off offset:480 ; 8-byte Folded Spill
	v_mov_b32_e32 v96, v0
	v_mov_b32_e32 v97, v4
	;; [unrolled: 1-line block ×3, first 2 shown]
	s_waitcnt vmcnt(22)
	v_mov_b32_e32 v0, v11
	s_waitcnt vmcnt(21)
	v_mov_b32_e32 v1, v15
	scratch_store_dwordx2 off, v[0:1], off offset:496 ; 8-byte Folded Spill
	v_mov_b32_e32 v0, v8
	v_mov_b32_e32 v1, v12
	scratch_store_dwordx2 off, v[0:1], off offset:504 ; 8-byte Folded Spill
	s_waitcnt vmcnt(22)
	v_mov_b32_e32 v0, v19
	s_waitcnt vmcnt(21)
	v_mov_b32_e32 v1, v23
	scratch_store_dwordx2 off, v[0:1], off offset:512 ; 8-byte Folded Spill
	s_waitcnt vmcnt(21)
	v_mov_b32_e32 v0, v27
	s_waitcnt vmcnt(20)
	;; [unrolled: 5-line block ×4, first 2 shown]
	v_mov_b32_e32 v1, v47
	v_mov_b32_e32 v12, v9
	;; [unrolled: 1-line block ×6, first 2 shown]
	scratch_store_dwordx2 off, v[0:1], off offset:536 ; 8-byte Folded Spill
	s_waitcnt vmcnt(18)
	v_mov_b32_e32 v0, v51
	s_waitcnt vmcnt(17)
	v_mov_b32_e32 v1, v55
	scratch_store_dwordx2 off, v[96:97], off offset:488 ; 8-byte Folded Spill
	scratch_store_dwordx4 off, v[4:7], off offset:416 ; 16-byte Folded Spill
	scratch_store_dwordx4 off, v[12:15], off offset:432 ; 16-byte Folded Spill
	;; [unrolled: 1-line block ×4, first 2 shown]
	scratch_store_dwordx2 off, v[0:1], off offset:544 ; 8-byte Folded Spill
	v_mov_b32_e32 v3, v6
	v_mov_b32_e32 v11, v14
	;; [unrolled: 1-line block ×3, first 2 shown]
	scratch_load_dwordx4 v[14:17], off, off
	scratch_load_dwordx4 v[6:9], off, off offset:16
	v_mov_b32_e32 v19, v22
	v_mov_b32_e32 v110, v24
	v_mov_b32_e32 v111, v28
	v_mov_b32_e32 v28, v25
	v_mov_b32_e32 v27, v30
	v_mov_b32_e32 v114, v32
	v_mov_b32_e32 v35, v38
	v_mov_b32_e32 v116, v40
	v_mov_b32_e32 v117, v44
	v_mov_b32_e32 v44, v41
	v_mov_b32_e32 v43, v46
	v_mov_b32_e32 v46, v48
	v_mov_b32_e32 v47, v52
	v_mov_b32_e32 v52, v49
	v_mov_b32_e32 v51, v54
	s_waitcnt vmcnt(24)
	v_mov_b32_e32 v48, v59
	s_waitcnt vmcnt(23)
	v_mov_b32_e32 v49, v63
	v_mov_b32_e32 v54, v56
	v_mov_b32_e32 v55, v60
	v_mov_b32_e32 v60, v57
	v_mov_b32_e32 v59, v62
.LBB3_27:                               ; =>This Loop Header: Depth=1
                                        ;     Child Loop BB3_28 Depth 2
	s_lshl_b64 s[0:1], s[24:25], 4
	s_add_u32 s0, s18, s0
	s_addc_u32 s1, s19, s1
	global_load_dwordx4 v[22:25], v99, s[0:1]
	scratch_load_dwordx2 v[12:13], off, off offset:528 ; 8-byte Folded Reload
	scratch_load_dwordx4 v[38:41], off, off offset:464 ; 16-byte Folded Reload
	scratch_load_dwordx4 v[118:121], off, off offset:448 ; 16-byte Folded Reload
	s_mov_b32 s40, s38
	s_mov_b64 s[30:31], s[28:29]
	s_waitcnt vmcnt(3)
	v_pk_fma_f32 v[4:5], v[22:23], v[54:55], v[48:49] op_sel_hi:[0,1,1]
	s_waitcnt vmcnt(2)
	v_pk_fma_f32 v[12:13], v[22:23], v[114:115], v[12:13] op_sel_hi:[0,1,1]
	v_pk_fma_f32 v[30:31], v[22:23], v[60:61], v[4:5] op_sel:[1,0,0]
	scratch_load_dwordx2 v[4:5], off, off offset:544 ; 8-byte Folded Reload
	s_waitcnt vmcnt(2)
	v_pk_fma_f32 v[38:39], v[22:23], v[38:39], v[12:13] op_sel:[1,0,0]
	scratch_load_dwordx2 v[12:13], off, off offset:520 ; 8-byte Folded Reload
	v_ashrrev_i32_e32 v1, 31, v25
	v_mov_b32_e32 v0, v25
	v_fma_f32 v113, v22, v64, v67
	v_fma_f32 v100, v22, v68, v71
	v_fma_f32 v101, v22, v72, v75
	v_fma_f32 v40, v22, v84, v87
	v_fma_f32 v41, v22, v88, v91
	v_lshlrev_b64 v[0:1], 4, v[0:1]
	v_fmac_f32_e32 v113, v23, v65
	v_fmac_f32_e32 v100, v23, v69
	;; [unrolled: 1-line block ×5, first 2 shown]
	v_lshl_add_u64 v[0:1], s[22:23], 0, v[0:1]
	v_fmac_f32_e32 v113, v24, v66
	v_fmac_f32_e32 v100, v24, v70
	;; [unrolled: 1-line block ×5, first 2 shown]
	s_waitcnt vmcnt(1)
	v_pk_fma_f32 v[4:5], v[22:23], v[46:47], v[4:5] op_sel_hi:[0,1,1]
	v_pk_fma_f32 v[32:33], v[22:23], v[52:53], v[4:5] op_sel:[1,0,0]
	s_waitcnt vmcnt(0)
	v_pk_fma_f32 v[12:13], v[22:23], v[110:111], v[12:13] op_sel_hi:[0,1,1]
	scratch_load_dwordx2 v[4:5], off, off offset:536 ; 8-byte Folded Reload
	v_pk_fma_f32 v[96:97], v[22:23], v[28:29], v[12:13] op_sel:[1,0,0]
	scratch_load_dwordx2 v[12:13], off, off offset:512 ; 8-byte Folded Reload
	v_pk_fma_f32 v[62:63], v[24:25], v[50:51], v[32:33] op_sel_hi:[0,1,1]
	v_pk_fma_f32 v[122:123], v[24:25], v[26:27], v[96:97] op_sel_hi:[0,1,1]
	s_waitcnt vmcnt(1)
	v_pk_fma_f32 v[4:5], v[22:23], v[116:117], v[4:5] op_sel_hi:[0,1,1]
	v_pk_fma_f32 v[36:37], v[22:23], v[44:45], v[4:5] op_sel:[1,0,0]
	s_waitcnt vmcnt(0)
	v_pk_fma_f32 v[12:13], v[22:23], v[106:107], v[12:13] op_sel_hi:[0,1,1]
	v_pk_fma_f32 v[102:103], v[22:23], v[118:119], v[12:13] op_sel:[1,0,0]
	scratch_load_dwordx2 v[12:13], off, off offset:496 ; 8-byte Folded Reload
	scratch_load_dwordx2 v[20:21], off, off offset:504 ; 8-byte Folded Reload
	scratch_load_dwordx4 v[118:121], off, off offset:432 ; 16-byte Folded Reload
	v_fma_f32 v4, v22, v76, v79
	v_fma_f32 v5, v22, v80, v83
	v_fmac_f32_e32 v4, v23, v77
	v_fmac_f32_e32 v5, v23, v81
	;; [unrolled: 1-line block ×4, first 2 shown]
	v_pk_fma_f32 v[124:125], v[24:25], v[18:19], v[102:103] op_sel_hi:[0,1,1]
	s_waitcnt vmcnt(1)
	v_pk_fma_f32 v[12:13], v[22:23], v[20:21], v[12:13] op_sel_hi:[0,1,1]
	scratch_load_dwordx2 v[20:21], off, off offset:480 ; 8-byte Folded Reload
	scratch_load_dwordx2 v[56:57], off, off offset:488 ; 8-byte Folded Reload
	s_waitcnt vmcnt(2)
	v_pk_fma_f32 v[126:127], v[22:23], v[118:119], v[12:13] op_sel:[1,0,0]
	scratch_load_dwordx4 v[118:121], off, off offset:416 ; 16-byte Folded Reload
	v_fma_f32 v12, v22, v92, v95
	v_fmac_f32_e32 v12, v23, v93
	s_waitcnt vmcnt(0)
	v_pk_fma_f32 v[120:121], v[24:25], v[34:35], v[38:39] op_sel_hi:[0,1,1]
	v_pk_fma_f32 v[126:127], v[24:25], v[10:11], v[126:127] op_sel_hi:[0,1,1]
	v_fmac_f32_e32 v12, v24, v94
	v_pk_fma_f32 v[56:57], v[22:23], v[56:57], v[20:21] op_sel_hi:[0,1,1]
	v_pk_fma_f32 v[22:23], v[22:23], v[118:119], v[56:57] op_sel:[1,0,0]
	v_pk_fma_f32 v[56:57], v[24:25], v[58:59], v[30:31] op_sel_hi:[0,1,1]
	v_pk_fma_f32 v[118:119], v[24:25], v[42:43], v[36:37] op_sel_hi:[0,1,1]
	;; [unrolled: 1-line block ×3, first 2 shown]
	global_load_dwordx4 v[22:25], v[0:1], off
	v_mov_b32_e32 v0, 0x40b00000
	s_waitcnt vmcnt(0)
	v_cmp_gt_f32_e64 s[8:9], 0, v24
	s_nop 1
	v_cndmask_b32_e64 v13, 1.0, v0, s[8:9]
	v_mov_b32_e32 v0, 0xff7fffff
	v_cmp_lt_f32_e64 s[2:3], 0, v24
	v_cmp_eq_u32_e64 s[4:5], s27, v22
	v_cmp_eq_u32_e64 s[6:7], s36, v22
	v_cndmask_b32_e64 v102, v0, 1.0, s[8:9]
.LBB3_28:                               ;   Parent Loop BB3_27 Depth=1
                                        ; =>  This Inner Loop Header: Depth=2
	global_load_dwordx4 v[30:33], v99, s[30:31] offset:-8
	s_waitcnt vmcnt(0)
	v_ashrrev_i32_e32 v1, 31, v33
	v_mov_b32_e32 v0, v33
	v_lshlrev_b64 v[0:1], 4, v[0:1]
	v_lshl_add_u64 v[0:1], s[22:23], 0, v[0:1]
	global_load_dwordx4 v[36:39], v[0:1], off
	s_waitcnt vmcnt(0)
	v_add_f32_e32 v112, v23, v37
	v_div_scale_f32 v0, s[0:1], v112, v112, 1.0
	v_rcp_f32_e32 v1, v0
	v_cmp_lt_f32_e64 s[0:1], 0, v38
	s_and_b64 s[0:1], s[0:1], s[8:9]
	v_cmp_neq_f32_e64 s[10:11], 0, v38
	v_fma_f32 v20, -v0, v1, 1.0
	v_fmac_f32_e32 v1, v20, v1
	v_div_scale_f32 v20, vcc, 1.0, v112, 1.0
	v_mul_f32_e32 v21, v20, v1
	v_fma_f32 v22, -v0, v21, v20
	v_fmac_f32_e32 v21, v22, v1
	v_fma_f32 v0, -v0, v21, v20
	v_div_fmas_f32 v0, v0, v1, v21
	v_cmp_eq_u32_e32 vcc, s27, v36
	v_div_fixup_f32 v98, v0, v112, 1.0
	s_and_b64 vcc, vcc, s[4:5]
	v_mov_b32_e32 v0, 0x3e800000
	v_cndmask_b32_e64 v1, 2.0, 4.0, vcc
	v_cndmask_b32_e32 v104, 0.5, v0, vcc
	v_cmp_eq_u32_e32 vcc, s36, v36
	s_or_b64 s[34:35], vcc, s[6:7]
	v_cmp_gt_f32_e32 vcc, 0, v38
	v_cndmask_b32_e64 v21, v24, -v24, s[0:1]
	s_and_b64 s[14:15], vcc, s[2:3]
	v_cndmask_b32_e32 v103, v102, v13, vcc
	v_div_scale_f32 v0, s[0:1], v103, v103, 1.0
	v_rcp_f32_e32 v22, v0
	v_cndmask_b32_e64 v20, v38, -v38, s[14:15]
	v_mul_f32_e32 v108, v25, v39
	v_mov_b32_e32 v38, v30
	v_fma_f32 v33, -v0, v22, 1.0
	v_fmac_f32_e32 v22, v33, v22
	v_div_scale_f32 v33, vcc, 1.0, v103, 1.0
	v_mul_f32_e32 v36, v33, v22
	v_fma_f32 v37, -v0, v36, v33
	v_fmac_f32_e32 v36, v37, v22
	v_mov_b32_e32 v39, v32
	v_fma_f32 v0, -v0, v36, v33
	v_pk_add_f32 v[32:33], v[56:57], v[38:39] neg_lo:[0,1] neg_hi:[0,1]
	v_div_fmas_f32 v0, v0, v22, v36
	v_add_f32_e32 v22, v20, v21
	v_sub_f32_e32 v20, v113, v31
	v_pk_mul_f32 v[32:33], v[32:33], v[32:33]
	v_pk_add_f32 v[36:37], v[62:63], v[38:39] neg_lo:[0,1] neg_hi:[0,1]
	v_fma_f32 v20, v20, v20, v32
	v_add_f32_e32 v20, v20, v33
	v_cmp_gt_f32_e32 vcc, s37, v20
	v_mul_f32_e32 v21, 0x4f800000, v20
	v_pk_mul_f32 v[36:37], v[36:37], v[36:37]
	v_cndmask_b32_e32 v20, v20, v21, vcc
	v_sqrt_f32_e32 v21, v20
	v_div_fixup_f32 v0, v0, v103, 1.0
	v_add_u32_e32 v30, -1, v21
	v_fma_f32 v32, -v30, v21, v20
	v_cmp_ge_f32_e64 s[0:1], 0, v32
	v_add_u32_e32 v32, 1, v21
	s_nop 0
	v_cndmask_b32_e64 v30, v21, v30, s[0:1]
	v_fma_f32 v21, -v32, v21, v20
	v_cmp_lt_f32_e64 s[0:1], 0, v21
	s_nop 1
	v_cndmask_b32_e64 v21, v30, v32, s[0:1]
	v_mul_f32_e32 v30, 0x37800000, v21
	v_cndmask_b32_e32 v21, v21, v30, vcc
	v_cmp_class_f32_e32 vcc, v20, v105
	s_nop 1
	v_cndmask_b32_e32 v32, v21, v20, vcc
	v_sub_f32_e32 v20, v100, v31
	v_fma_f32 v20, v20, v20, v36
	v_add_f32_e32 v20, v20, v37
	v_cmp_gt_f32_e32 vcc, s37, v20
	v_mul_f32_e32 v21, 0x4f800000, v20
	s_nop 0
	v_cndmask_b32_e32 v20, v20, v21, vcc
	v_sqrt_f32_e32 v21, v20
	s_nop 0
	v_add_u32_e32 v30, -1, v21
	v_fma_f32 v33, -v30, v21, v20
	v_cmp_ge_f32_e64 s[0:1], 0, v33
	v_add_u32_e32 v33, 1, v21
	s_nop 0
	v_cndmask_b32_e64 v30, v21, v30, s[0:1]
	v_fma_f32 v21, -v33, v21, v20
	v_cmp_lt_f32_e64 s[0:1], 0, v21
	s_nop 1
	v_cndmask_b32_e64 v21, v30, v33, s[0:1]
	v_mul_f32_e32 v30, 0x37800000, v21
	v_cndmask_b32_e32 v21, v21, v30, vcc
	v_cmp_class_f32_e32 vcc, v20, v105
	v_sub_f32_e32 v30, v101, v31
	s_nop 0
	v_cndmask_b32_e32 v33, v21, v20, vcc
	v_pk_add_f32 v[36:37], v[32:33], v[112:113] op_sel_hi:[1,0] neg_lo:[0,1] neg_hi:[0,1]
	v_pk_fma_f32 v[32:33], v[98:99], v[32:33], 1.0 op_sel_hi:[0,1,0] neg_lo:[1,0,0] neg_hi:[1,0,0]
	v_cmp_gt_f32_e32 vcc, 0, v36
	v_cmp_gt_f32_e64 s[0:1], 0, v37
	v_cmp_lt_f32_e64 s[14:15], v36, v1
	v_cndmask_b32_e32 v20, 0, v109, vcc
	v_cndmask_b32_e64 v21, 0, v109, s[0:1]
	v_pk_fma_f32 v[14:15], v[32:33], v[20:21], v[14:15]
	v_pk_fma_f32 v[20:21], v[104:105], v[36:37], 1.0 op_sel_hi:[0,1,0] neg_lo:[1,0,0] neg_hi:[1,0,0]
	v_cmp_lt_f32_e64 s[16:17], v37, v1
	v_cndmask_b32_e64 v21, v21, 1.0, s[0:1]
	v_cndmask_b32_e64 v20, v20, 1.0, vcc
	v_cndmask_b32_e64 v33, 0, 1.0, s[16:17]
	v_cndmask_b32_e64 v32, 0, 1.0, s[14:15]
	v_pk_mul_f32 v[20:21], v[32:33], v[20:21]
	v_cmp_lt_f32_e64 s[14:15], v37, v103
	v_pk_mul_f32 v[20:21], v[108:109], v[20:21] op_sel_hi:[0,1]
	v_cmp_lt_f32_e64 s[16:17], v36, v103
	v_cndmask_b32_e64 v21, v21, -|v21|, s[34:35]
	v_cndmask_b32_e64 v20, v20, -|v20|, s[34:35]
	s_and_b64 s[16:17], s[10:11], s[16:17]
	s_and_b64 s[14:15], s[10:11], s[14:15]
	v_pk_fma_f32 v[14:15], v[20:21], s[26:27], v[14:15] op_sel_hi:[1,0,1]
	v_pk_fma_f32 v[20:21], v[0:1], v[36:37], 1.0 op_sel_hi:[0,1,0] neg_lo:[1,0,0] neg_hi:[1,0,0]
	v_cndmask_b32_e64 v33, 0, 1.0, s[14:15]
	v_cndmask_b32_e64 v32, 0, 1.0, s[16:17]
	v_pk_mul_f32 v[32:33], v[22:23], v[32:33] op_sel_hi:[0,1]
	v_cndmask_b32_e64 v21, v21, 1.0, s[0:1]
	v_cndmask_b32_e64 v20, v20, 1.0, vcc
	v_pk_fma_f32 v[14:15], v[20:21], v[32:33], v[14:15]
	v_pk_add_f32 v[20:21], v[118:119], v[38:39] neg_lo:[0,1] neg_hi:[0,1]
	s_nop 0
	v_pk_mul_f32 v[20:21], v[20:21], v[20:21]
	s_nop 0
	v_fma_f32 v20, v30, v30, v20
	v_add_f32_e32 v20, v20, v21
	v_cmp_gt_f32_e32 vcc, s37, v20
	v_mul_f32_e32 v21, 0x4f800000, v20
	s_nop 0
	v_cndmask_b32_e32 v20, v20, v21, vcc
	v_sqrt_f32_e32 v21, v20
	s_nop 0
	v_add_u32_e32 v30, -1, v21
	v_fma_f32 v32, -v30, v21, v20
	v_cmp_ge_f32_e64 s[0:1], 0, v32
	v_add_u32_e32 v32, 1, v21
	s_nop 0
	v_cndmask_b32_e64 v30, v21, v30, s[0:1]
	v_fma_f32 v21, -v32, v21, v20
	v_cmp_lt_f32_e64 s[0:1], 0, v21
	s_nop 1
	v_cndmask_b32_e64 v21, v30, v32, s[0:1]
	v_mul_f32_e32 v30, 0x37800000, v21
	v_cndmask_b32_e32 v21, v21, v30, vcc
	v_cmp_class_f32_e32 vcc, v20, v105
	v_pk_add_f32 v[32:33], v[120:121], v[38:39] neg_lo:[0,1] neg_hi:[0,1]
	s_nop 0
	v_cndmask_b32_e32 v20, v21, v20, vcc
	v_sub_f32_e32 v21, v4, v31
	v_pk_mul_f32 v[32:33], v[32:33], v[32:33]
	s_nop 0
	v_fma_f32 v21, v21, v21, v32
	v_add_f32_e32 v21, v21, v33
	v_cmp_gt_f32_e32 vcc, s37, v21
	v_mul_f32_e32 v30, 0x4f800000, v21
	s_nop 0
	v_cndmask_b32_e32 v21, v21, v30, vcc
	v_sqrt_f32_e32 v30, v21
	s_nop 0
	v_add_u32_e32 v32, -1, v30
	v_fma_f32 v33, -v32, v30, v21
	v_cmp_ge_f32_e64 s[0:1], 0, v33
	v_add_u32_e32 v33, 1, v30
	s_nop 0
	v_cndmask_b32_e64 v32, v30, v32, s[0:1]
	v_fma_f32 v30, -v33, v30, v21
	v_cmp_lt_f32_e64 s[0:1], 0, v30
	s_nop 1
	v_cndmask_b32_e64 v30, v32, v33, s[0:1]
	v_mul_f32_e32 v32, 0x37800000, v30
	v_cndmask_b32_e32 v30, v30, v32, vcc
	v_cmp_class_f32_e32 vcc, v21, v105
	s_nop 1
	v_cndmask_b32_e32 v21, v30, v21, vcc
	v_pk_add_f32 v[32:33], v[20:21], v[112:113] op_sel_hi:[1,0] neg_lo:[0,1] neg_hi:[0,1]
	v_pk_fma_f32 v[20:21], v[98:99], v[20:21], 1.0 op_sel_hi:[0,1,0] neg_lo:[1,0,0] neg_hi:[1,0,0]
	v_cmp_gt_f32_e32 vcc, 0, v32
	v_cmp_gt_f32_e64 s[0:1], 0, v33
	v_cmp_lt_f32_e64 s[14:15], v32, v1
	v_cndmask_b32_e32 v36, 0, v109, vcc
	v_cndmask_b32_e64 v37, 0, v109, s[0:1]
	v_pk_fma_f32 v[16:17], v[20:21], v[36:37], v[16:17]
	v_pk_fma_f32 v[20:21], v[104:105], v[32:33], 1.0 op_sel_hi:[0,1,0] neg_lo:[1,0,0] neg_hi:[1,0,0]
	v_cmp_lt_f32_e64 s[16:17], v33, v1
	v_cndmask_b32_e64 v21, v21, 1.0, s[0:1]
	v_cndmask_b32_e64 v20, v20, 1.0, vcc
	v_cndmask_b32_e64 v37, 0, 1.0, s[16:17]
	v_cndmask_b32_e64 v36, 0, 1.0, s[14:15]
	v_pk_mul_f32 v[20:21], v[36:37], v[20:21]
	v_cmp_lt_f32_e64 s[14:15], v33, v103
	v_pk_mul_f32 v[20:21], v[108:109], v[20:21] op_sel_hi:[0,1]
	v_cmp_lt_f32_e64 s[16:17], v32, v103
	v_cndmask_b32_e64 v21, v21, -|v21|, s[34:35]
	v_cndmask_b32_e64 v20, v20, -|v20|, s[34:35]
	s_and_b64 s[16:17], s[10:11], s[16:17]
	s_and_b64 s[14:15], s[10:11], s[14:15]
	v_pk_fma_f32 v[16:17], v[20:21], s[26:27], v[16:17] op_sel_hi:[1,0,1]
	v_pk_fma_f32 v[20:21], v[0:1], v[32:33], 1.0 op_sel_hi:[0,1,0] neg_lo:[1,0,0] neg_hi:[1,0,0]
	v_cndmask_b32_e64 v33, 0, 1.0, s[14:15]
	v_cndmask_b32_e64 v32, 0, 1.0, s[16:17]
	v_pk_mul_f32 v[32:33], v[22:23], v[32:33] op_sel_hi:[0,1]
	v_cndmask_b32_e64 v21, v21, 1.0, s[0:1]
	v_cndmask_b32_e64 v20, v20, 1.0, vcc
	v_pk_fma_f32 v[16:17], v[20:21], v[32:33], v[16:17]
	v_pk_add_f32 v[20:21], v[122:123], v[38:39] neg_lo:[0,1] neg_hi:[0,1]
	v_sub_f32_e32 v30, v5, v31
	v_pk_mul_f32 v[20:21], v[20:21], v[20:21]
	s_nop 0
	v_fma_f32 v20, v30, v30, v20
	v_add_f32_e32 v20, v20, v21
	v_cmp_gt_f32_e32 vcc, s37, v20
	v_mul_f32_e32 v21, 0x4f800000, v20
	s_nop 0
	v_cndmask_b32_e32 v20, v20, v21, vcc
	v_sqrt_f32_e32 v21, v20
	s_nop 0
	v_add_u32_e32 v30, -1, v21
	v_fma_f32 v32, -v30, v21, v20
	v_cmp_ge_f32_e64 s[0:1], 0, v32
	v_add_u32_e32 v32, 1, v21
	s_nop 0
	v_cndmask_b32_e64 v30, v21, v30, s[0:1]
	v_fma_f32 v21, -v32, v21, v20
	v_cmp_lt_f32_e64 s[0:1], 0, v21
	s_nop 1
	v_cndmask_b32_e64 v21, v30, v32, s[0:1]
	v_mul_f32_e32 v30, 0x37800000, v21
	v_cndmask_b32_e32 v21, v21, v30, vcc
	v_cmp_class_f32_e32 vcc, v20, v105
	v_pk_add_f32 v[32:33], v[124:125], v[38:39] neg_lo:[0,1] neg_hi:[0,1]
	s_nop 0
	v_cndmask_b32_e32 v20, v21, v20, vcc
	v_sub_f32_e32 v21, v40, v31
	v_pk_mul_f32 v[32:33], v[32:33], v[32:33]
	s_nop 0
	v_fma_f32 v21, v21, v21, v32
	v_add_f32_e32 v21, v21, v33
	v_cmp_gt_f32_e32 vcc, s37, v21
	v_mul_f32_e32 v30, 0x4f800000, v21
	s_nop 0
	v_cndmask_b32_e32 v21, v21, v30, vcc
	v_sqrt_f32_e32 v30, v21
	s_nop 0
	v_add_u32_e32 v32, -1, v30
	v_fma_f32 v33, -v32, v30, v21
	v_cmp_ge_f32_e64 s[0:1], 0, v33
	v_add_u32_e32 v33, 1, v30
	s_nop 0
	v_cndmask_b32_e64 v32, v30, v32, s[0:1]
	v_fma_f32 v30, -v33, v30, v21
	v_cmp_lt_f32_e64 s[0:1], 0, v30
	s_nop 1
	v_cndmask_b32_e64 v30, v32, v33, s[0:1]
	v_mul_f32_e32 v32, 0x37800000, v30
	v_cndmask_b32_e32 v30, v30, v32, vcc
	v_cmp_class_f32_e32 vcc, v21, v105
	s_nop 1
	v_cndmask_b32_e32 v21, v30, v21, vcc
	v_pk_add_f32 v[32:33], v[20:21], v[112:113] op_sel_hi:[1,0] neg_lo:[0,1] neg_hi:[0,1]
	v_pk_fma_f32 v[20:21], v[98:99], v[20:21], 1.0 op_sel_hi:[0,1,0] neg_lo:[1,0,0] neg_hi:[1,0,0]
	v_cmp_gt_f32_e32 vcc, 0, v32
	v_cmp_gt_f32_e64 s[0:1], 0, v33
	v_cmp_lt_f32_e64 s[14:15], v32, v1
	v_cndmask_b32_e32 v36, 0, v109, vcc
	v_cndmask_b32_e64 v37, 0, v109, s[0:1]
	v_pk_fma_f32 v[6:7], v[20:21], v[36:37], v[6:7]
	v_pk_fma_f32 v[20:21], v[104:105], v[32:33], 1.0 op_sel_hi:[0,1,0] neg_lo:[1,0,0] neg_hi:[1,0,0]
	v_cmp_lt_f32_e64 s[16:17], v33, v1
	v_cndmask_b32_e64 v21, v21, 1.0, s[0:1]
	v_cndmask_b32_e64 v20, v20, 1.0, vcc
	v_cndmask_b32_e64 v37, 0, 1.0, s[16:17]
	v_cndmask_b32_e64 v36, 0, 1.0, s[14:15]
	v_pk_mul_f32 v[20:21], v[36:37], v[20:21]
	v_cmp_lt_f32_e64 s[14:15], v33, v103
	v_pk_mul_f32 v[20:21], v[108:109], v[20:21] op_sel_hi:[0,1]
	v_cmp_lt_f32_e64 s[16:17], v32, v103
	v_cndmask_b32_e64 v21, v21, -|v21|, s[34:35]
	v_cndmask_b32_e64 v20, v20, -|v20|, s[34:35]
	s_and_b64 s[16:17], s[10:11], s[16:17]
	s_and_b64 s[14:15], s[10:11], s[14:15]
	v_pk_fma_f32 v[6:7], v[20:21], s[26:27], v[6:7] op_sel_hi:[1,0,1]
	v_pk_fma_f32 v[20:21], v[0:1], v[32:33], 1.0 op_sel_hi:[0,1,0] neg_lo:[1,0,0] neg_hi:[1,0,0]
	v_cndmask_b32_e64 v33, 0, 1.0, s[14:15]
	v_cndmask_b32_e64 v32, 0, 1.0, s[16:17]
	v_pk_mul_f32 v[32:33], v[22:23], v[32:33] op_sel_hi:[0,1]
	v_cndmask_b32_e64 v21, v21, 1.0, s[0:1]
	v_cndmask_b32_e64 v20, v20, 1.0, vcc
	v_pk_fma_f32 v[6:7], v[20:21], v[32:33], v[6:7]
	v_pk_add_f32 v[20:21], v[126:127], v[38:39] neg_lo:[0,1] neg_hi:[0,1]
	v_sub_f32_e32 v30, v41, v31
	v_pk_mul_f32 v[20:21], v[20:21], v[20:21]
	v_sub_f32_e32 v31, v12, v31
	v_fma_f32 v20, v30, v30, v20
	v_add_f32_e32 v20, v20, v21
	v_cmp_gt_f32_e32 vcc, s37, v20
	v_mul_f32_e32 v21, 0x4f800000, v20
	s_nop 0
	v_cndmask_b32_e32 v20, v20, v21, vcc
	v_sqrt_f32_e32 v21, v20
	s_nop 0
	v_add_u32_e32 v30, -1, v21
	v_fma_f32 v32, -v30, v21, v20
	v_cmp_ge_f32_e64 s[0:1], 0, v32
	v_add_u32_e32 v32, 1, v21
	s_nop 0
	v_cndmask_b32_e64 v30, v21, v30, s[0:1]
	v_fma_f32 v21, -v32, v21, v20
	v_cmp_lt_f32_e64 s[0:1], 0, v21
	s_nop 1
	v_cndmask_b32_e64 v21, v30, v32, s[0:1]
	v_mul_f32_e32 v30, 0x37800000, v21
	v_cndmask_b32_e32 v21, v21, v30, vcc
	v_cmp_class_f32_e32 vcc, v20, v105
	s_nop 1
	v_cndmask_b32_e32 v30, v21, v20, vcc
	v_pk_add_f32 v[20:21], v[96:97], v[38:39] neg_lo:[0,1] neg_hi:[0,1]
	s_nop 0
	v_pk_mul_f32 v[20:21], v[20:21], v[20:21]
	s_nop 0
	v_fma_f32 v20, v31, v31, v20
	v_add_f32_e32 v20, v20, v21
	v_cmp_gt_f32_e32 vcc, s37, v20
	v_mul_f32_e32 v21, 0x4f800000, v20
	s_nop 0
	v_cndmask_b32_e32 v31, v20, v21, vcc
	v_sqrt_f32_e32 v20, v31
	s_nop 0
	v_add_u32_e32 v21, -1, v20
	v_fma_f32 v32, -v21, v20, v31
	v_cmp_ge_f32_e64 s[0:1], 0, v32
	v_add_u32_e32 v32, 1, v20
	s_nop 0
	v_cndmask_b32_e64 v21, v20, v21, s[0:1]
	v_fma_f32 v20, -v32, v20, v31
	v_cmp_lt_f32_e64 s[0:1], 0, v20
	s_nop 1
	v_cndmask_b32_e64 v20, v21, v32, s[0:1]
	v_mul_f32_e32 v21, 0x37800000, v20
	v_cndmask_b32_e32 v20, v20, v21, vcc
	v_cmp_class_f32_e32 vcc, v31, v105
	s_nop 1
	v_cndmask_b32_e32 v31, v20, v31, vcc
	v_pk_add_f32 v[32:33], v[30:31], v[112:113] op_sel_hi:[1,0] neg_lo:[0,1] neg_hi:[0,1]
	v_pk_fma_f32 v[20:21], v[98:99], v[30:31], 1.0 op_sel_hi:[0,1,0] neg_lo:[1,0,0] neg_hi:[1,0,0]
	v_cmp_gt_f32_e32 vcc, 0, v32
	v_cmp_gt_f32_e64 s[0:1], 0, v33
	v_cmp_lt_f32_e64 s[14:15], v32, v1
	v_cndmask_b32_e32 v30, 0, v109, vcc
	v_cndmask_b32_e64 v31, 0, v109, s[0:1]
	v_pk_fma_f32 v[8:9], v[20:21], v[30:31], v[8:9]
	v_pk_fma_f32 v[20:21], v[104:105], v[32:33], 1.0 op_sel_hi:[0,1,0] neg_lo:[1,0,0] neg_hi:[1,0,0]
	v_cmp_lt_f32_e64 s[16:17], v33, v1
	v_cndmask_b32_e64 v21, v21, 1.0, s[0:1]
	v_cndmask_b32_e64 v20, v20, 1.0, vcc
	v_cndmask_b32_e64 v31, 0, 1.0, s[16:17]
	v_cndmask_b32_e64 v30, 0, 1.0, s[14:15]
	v_pk_mul_f32 v[20:21], v[30:31], v[20:21]
	v_cmp_lt_f32_e64 s[14:15], v33, v103
	v_pk_mul_f32 v[20:21], v[108:109], v[20:21] op_sel_hi:[0,1]
	v_cmp_lt_f32_e64 s[16:17], v32, v103
	v_cndmask_b32_e64 v21, v21, -|v21|, s[34:35]
	v_cndmask_b32_e64 v20, v20, -|v20|, s[34:35]
	s_and_b64 s[16:17], s[10:11], s[16:17]
	s_and_b64 s[10:11], s[10:11], s[14:15]
	v_pk_fma_f32 v[8:9], v[20:21], s[26:27], v[8:9] op_sel_hi:[1,0,1]
	v_pk_fma_f32 v[0:1], v[0:1], v[32:33], 1.0 op_sel_hi:[0,1,0] neg_lo:[1,0,0] neg_hi:[1,0,0]
	v_cndmask_b32_e64 v21, 0, 1.0, s[10:11]
	v_cndmask_b32_e64 v20, 0, 1.0, s[16:17]
	s_add_u32 s30, s30, 16
	v_pk_mul_f32 v[20:21], v[22:23], v[20:21] op_sel_hi:[0,1]
	v_cndmask_b32_e64 v1, v1, 1.0, s[0:1]
	v_cndmask_b32_e64 v0, v0, 1.0, vcc
	s_addc_u32 s31, s31, 0
	s_add_i32 s40, s40, -1
	v_pk_fma_f32 v[8:9], v[0:1], v[20:21], v[8:9]
	s_cmp_lg_u32 s40, 0
	s_cbranch_scc1 .LBB3_28
; %bb.29:                               ;   in Loop: Header=BB3_27 Depth=1
	s_add_i32 s24, s24, 1
	s_cmp_lg_u32 s24, s39
	s_cbranch_scc1 .LBB3_27
; %bb.30:
	scratch_store_dwordx4 off, v[14:17], off
	scratch_store_dwordx4 off, v[6:9], off offset:16
	s_and_saveexec_b64 s[0:1], s[12:13]
	s_cbranch_execz .LBB3_32
; %bb.31:
	scratch_load_dwordx2 v[0:1], off, off offset:552 ; 8-byte Folded Reload
	v_mov_b32_e32 v5, 0
	v_mul_f32_e32 v2, 0.5, v14
	s_waitcnt vmcnt(0)
	v_mov_b32_e32 v4, v0
	v_lshl_add_u64 v[0:1], v[4:5], 2, s[20:21]
	v_add_u32_e32 v4, s33, v4
	global_store_dword v[0:1], v2, off
	v_mul_f32_e32 v2, 0.5, v15
	v_lshl_add_u64 v[0:1], v[4:5], 2, s[20:21]
	v_add_u32_e32 v4, s33, v4
	global_store_dword v[0:1], v2, off
	v_mul_f32_e32 v2, 0.5, v16
	;; [unrolled: 4-line block ×7, first 2 shown]
	v_lshl_add_u64 v[0:1], v[4:5], 2, s[20:21]
	global_store_dword v[0:1], v2, off
.LBB3_32:
	s_endpgm
	.section	.rodata,"a",@progbits
	.p2align	6, 0x0
	.amdhsa_kernel _ZL11fasten_mainILm8EEviiPK4AtomS2_PKfS4_S4_S4_S4_S4_PfPK8FFParamsi
		.amdhsa_group_segment_fixed_size 0
		.amdhsa_private_segment_fixed_size 576
		.amdhsa_kernarg_size 352
		.amdhsa_user_sgpr_count 2
		.amdhsa_user_sgpr_dispatch_ptr 0
		.amdhsa_user_sgpr_queue_ptr 0
		.amdhsa_user_sgpr_kernarg_segment_ptr 1
		.amdhsa_user_sgpr_dispatch_id 0
		.amdhsa_user_sgpr_kernarg_preload_length 0
		.amdhsa_user_sgpr_kernarg_preload_offset 0
		.amdhsa_user_sgpr_private_segment_size 0
		.amdhsa_uses_dynamic_stack 0
		.amdhsa_enable_private_segment 1
		.amdhsa_system_sgpr_workgroup_id_x 1
		.amdhsa_system_sgpr_workgroup_id_y 0
		.amdhsa_system_sgpr_workgroup_id_z 0
		.amdhsa_system_sgpr_workgroup_info 0
		.amdhsa_system_vgpr_workitem_id 0
		.amdhsa_next_free_vgpr 128
		.amdhsa_next_free_sgpr 49
		.amdhsa_accum_offset 128
		.amdhsa_reserve_vcc 1
		.amdhsa_float_round_mode_32 0
		.amdhsa_float_round_mode_16_64 0
		.amdhsa_float_denorm_mode_32 3
		.amdhsa_float_denorm_mode_16_64 3
		.amdhsa_dx10_clamp 1
		.amdhsa_ieee_mode 1
		.amdhsa_fp16_overflow 0
		.amdhsa_tg_split 0
		.amdhsa_exception_fp_ieee_invalid_op 0
		.amdhsa_exception_fp_denorm_src 0
		.amdhsa_exception_fp_ieee_div_zero 0
		.amdhsa_exception_fp_ieee_overflow 0
		.amdhsa_exception_fp_ieee_underflow 0
		.amdhsa_exception_fp_ieee_inexact 0
		.amdhsa_exception_int_div_zero 0
	.end_amdhsa_kernel
	.section	.text._ZL11fasten_mainILm8EEviiPK4AtomS2_PKfS4_S4_S4_S4_S4_PfPK8FFParamsi,"axG",@progbits,_ZL11fasten_mainILm8EEviiPK4AtomS2_PKfS4_S4_S4_S4_S4_PfPK8FFParamsi,comdat
.Lfunc_end3:
	.size	_ZL11fasten_mainILm8EEviiPK4AtomS2_PKfS4_S4_S4_S4_S4_PfPK8FFParamsi, .Lfunc_end3-_ZL11fasten_mainILm8EEviiPK4AtomS2_PKfS4_S4_S4_S4_S4_PfPK8FFParamsi
                                        ; -- End function
	.set _ZL11fasten_mainILm8EEviiPK4AtomS2_PKfS4_S4_S4_S4_S4_PfPK8FFParamsi.num_vgpr, 128
	.set _ZL11fasten_mainILm8EEviiPK4AtomS2_PKfS4_S4_S4_S4_S4_PfPK8FFParamsi.num_agpr, 0
	.set _ZL11fasten_mainILm8EEviiPK4AtomS2_PKfS4_S4_S4_S4_S4_PfPK8FFParamsi.numbered_sgpr, 49
	.set _ZL11fasten_mainILm8EEviiPK4AtomS2_PKfS4_S4_S4_S4_S4_PfPK8FFParamsi.num_named_barrier, 0
	.set _ZL11fasten_mainILm8EEviiPK4AtomS2_PKfS4_S4_S4_S4_S4_PfPK8FFParamsi.private_seg_size, 576
	.set _ZL11fasten_mainILm8EEviiPK4AtomS2_PKfS4_S4_S4_S4_S4_PfPK8FFParamsi.uses_vcc, 1
	.set _ZL11fasten_mainILm8EEviiPK4AtomS2_PKfS4_S4_S4_S4_S4_PfPK8FFParamsi.uses_flat_scratch, 0
	.set _ZL11fasten_mainILm8EEviiPK4AtomS2_PKfS4_S4_S4_S4_S4_PfPK8FFParamsi.has_dyn_sized_stack, 0
	.set _ZL11fasten_mainILm8EEviiPK4AtomS2_PKfS4_S4_S4_S4_S4_PfPK8FFParamsi.has_recursion, 0
	.set _ZL11fasten_mainILm8EEviiPK4AtomS2_PKfS4_S4_S4_S4_S4_PfPK8FFParamsi.has_indirect_call, 0
	.section	.AMDGPU.csdata,"",@progbits
; Kernel info:
; codeLenInByte = 8640
; TotalNumSgprs: 55
; NumVgprs: 128
; NumAgprs: 0
; TotalNumVgprs: 128
; ScratchSize: 576
; MemoryBound: 0
; FloatMode: 240
; IeeeMode: 1
; LDSByteSize: 0 bytes/workgroup (compile time only)
; SGPRBlocks: 6
; VGPRBlocks: 15
; NumSGPRsForWavesPerEU: 55
; NumVGPRsForWavesPerEU: 128
; AccumOffset: 128
; Occupancy: 4
; WaveLimiterHint : 1
; COMPUTE_PGM_RSRC2:SCRATCH_EN: 1
; COMPUTE_PGM_RSRC2:USER_SGPR: 2
; COMPUTE_PGM_RSRC2:TRAP_HANDLER: 0
; COMPUTE_PGM_RSRC2:TGID_X_EN: 1
; COMPUTE_PGM_RSRC2:TGID_Y_EN: 0
; COMPUTE_PGM_RSRC2:TGID_Z_EN: 0
; COMPUTE_PGM_RSRC2:TIDIG_COMP_CNT: 0
; COMPUTE_PGM_RSRC3_GFX90A:ACCUM_OFFSET: 31
; COMPUTE_PGM_RSRC3_GFX90A:TG_SPLIT: 0
	.section	.text._ZL11fasten_mainILm16EEviiPK4AtomS2_PKfS4_S4_S4_S4_S4_PfPK8FFParamsi,"axG",@progbits,_ZL11fasten_mainILm16EEviiPK4AtomS2_PKfS4_S4_S4_S4_S4_PfPK8FFParamsi,comdat
	.globl	_ZL11fasten_mainILm16EEviiPK4AtomS2_PKfS4_S4_S4_S4_S4_PfPK8FFParamsi ; -- Begin function _ZL11fasten_mainILm16EEviiPK4AtomS2_PKfS4_S4_S4_S4_S4_PfPK8FFParamsi
	.p2align	8
	.type	_ZL11fasten_mainILm16EEviiPK4AtomS2_PKfS4_S4_S4_S4_S4_PfPK8FFParamsi,@function
_ZL11fasten_mainILm16EEviiPK4AtomS2_PKfS4_S4_S4_S4_S4_PfPK8FFParamsi: ; @_ZL11fasten_mainILm16EEviiPK4AtomS2_PKfS4_S4_S4_S4_S4_PfPK8FFParamsi
; %bb.0:
	s_load_dword s3, s[0:1], 0x6c
	s_load_dword s4, s[0:1], 0x58
	s_load_dwordx16 s[16:31], s[0:1], 0x8
	s_mov_b32 s9, 0
	s_mov_b32 s34, 0
	s_waitcnt lgkmcnt(0)
	s_and_b32 s33, s3, 0xffff
	s_mul_i32 s2, s2, s33
	v_lshl_add_u32 v4, s2, 4, v0
	s_add_i32 s2, s4, -16
	v_mov_b32_e32 v0, s2
	v_cmp_gt_i32_e64 s[12:13], s4, v4
	v_mov_b32_e32 v2, v4
	scratch_store_dwordx2 off, v[2:3], off offset:1840 ; 8-byte Folded Spill
	v_cndmask_b32_e64 v0, v0, v4, s[12:13]
	v_ashrrev_i32_e32 v1, 31, v0
	v_lshlrev_b64 v[0:1], 2, v[0:1]
	s_lshl_b32 s8, s33, 2
	s_brev_b32 s35, 18
	s_mov_b32 s36, 0xfe5163ab
	v_mov_b32_e32 v3, 0
	s_mov_b32 s37, 0x3c439041
	s_mov_b32 s38, 0xdb629599
	;; [unrolled: 1-line block ×9, first 2 shown]
	v_mov_b32_e32 v5, 0x3c0881c4
	v_mov_b32_e32 v6, 0xbab64f3b
	s_brev_b32 s46, 1
	s_movk_i32 s47, 0x1f8
	v_not_b32_e32 v7, 63
	v_not_b32_e32 v8, 31
	v_mov_b32_e32 v9, 0x7fc00000
	s_mov_b32 s48, s9
                                        ; implicit-def: $vgpr2
                                        ; implicit-def: $vgpr2
	;; [unrolled: 1-line block ×3, first 2 shown]
	s_branch .LBB4_2
.LBB4_1:                                ;   in Loop: Header=BB4_2 Depth=1
	s_or_b64 exec, exec, s[2:3]
	v_mul_f32_e32 v2, v26, v26
	v_fmamk_f32 v27, v2, 0xb94c1982, v5
	v_fmaak_f32 v27, v2, v27, 0xbe2aaa9d
	v_mul_f32_e32 v27, v2, v27
	v_fmac_f32_e32 v26, v26, v27
	v_fmamk_f32 v27, v2, 0x37d75334, v6
	v_fmaak_f32 v27, v2, v27, 0x3d2aabf7
	v_fmaak_f32 v27, v2, v27, 0xbf000004
	v_fma_f32 v2, v2, v27, 1.0
	v_and_b32_e32 v27, 1, v25
	v_lshlrev_b32_e32 v25, 30, v25
	v_cmp_eq_u32_e32 vcc, 0, v27
	v_and_b32_e32 v25, 0x80000000, v25
	v_xor_b32_e32 v22, v22, v21
	v_cndmask_b32_e32 v2, v2, v26, vcc
	v_xor_b32_e32 v22, v22, v25
	v_cmp_class_f32_e64 vcc, v21, s47
	v_mul_f32_e32 v21, v20, v20
	v_xor_b32_e32 v2, v22, v2
	v_fmamk_f32 v22, v21, 0xb94c1982, v5
	v_fmaak_f32 v22, v21, v22, 0xbe2aaa9d
	v_mul_f32_e32 v22, v21, v22
	v_fmac_f32_e32 v20, v20, v22
	v_fmamk_f32 v22, v21, 0x37d75334, v6
	v_fmaak_f32 v22, v21, v22, 0x3d2aabf7
	v_fmaak_f32 v22, v21, v22, 0xbf000004
	v_fma_f32 v21, v21, v22, 1.0
	v_and_b32_e32 v22, 1, v4
	v_cmp_eq_u32_e64 s[2:3], 0, v22
	v_lshlrev_b32_e32 v4, 30, v4
	v_lshl_add_u64 v[26:27], s[28:29], 0, v[0:1]
	v_cndmask_b32_e64 v20, -v20, v21, s[2:3]
	v_bitop3_b32 v4, v4, v20, s46 bitop3:0x6c
	v_lshl_add_u64 v[20:21], s[26:27], 0, v[0:1]
	global_load_dword v21, v[20:21], off
	v_mul_f32_e32 v20, v19, v19
	global_load_dword v25, v[26:27], off
	v_lshl_add_u64 v[26:27], s[30:31], 0, v[0:1]
	global_load_dword v27, v[26:27], off
	v_fmamk_f32 v22, v20, 0xb94c1982, v5
	v_fmaak_f32 v22, v20, v22, 0xbe2aaa9d
	v_mul_f32_e32 v22, v20, v22
	v_fmac_f32_e32 v19, v19, v22
	v_fmamk_f32 v22, v20, 0x37d75334, v6
	v_fmaak_f32 v22, v20, v22, 0x3d2aabf7
	v_fmaak_f32 v22, v20, v22, 0xbf000004
	v_fma_f32 v20, v20, v22, 1.0
	v_and_b32_e32 v22, 1, v18
	v_lshlrev_b32_e32 v18, 30, v18
	v_cmp_class_f32_e64 s[2:3], v16, s47
	v_and_b32_e32 v18, 0x80000000, v18
	v_xor_b32_e32 v16, v17, v16
	v_mul_f32_e32 v17, v15, v15
	v_xor_b32_e32 v16, v16, v18
	v_fmamk_f32 v18, v17, 0xb94c1982, v5
	v_fmaak_f32 v18, v17, v18, 0xbe2aaa9d
	v_mul_f32_e32 v18, v17, v18
	v_fmac_f32_e32 v15, v15, v18
	v_fmamk_f32 v18, v17, 0x37d75334, v6
	v_cmp_eq_u32_e64 s[4:5], 0, v22
	v_fmaak_f32 v18, v17, v18, 0x3d2aabf7
	v_fmaak_f32 v18, v17, v18, 0xbf000004
	v_cndmask_b32_e64 v19, v20, v19, s[4:5]
	v_xor_b32_e32 v16, v16, v19
	v_fma_f32 v17, v17, v18, 1.0
	v_and_b32_e32 v18, 1, v14
	v_cndmask_b32_e64 v4, v9, v4, s[2:3]
	v_cndmask_b32_e64 v16, v9, v16, s[2:3]
	v_cmp_eq_u32_e64 s[2:3], 0, v18
	v_lshlrev_b32_e32 v14, 30, v14
	v_cndmask_b32_e32 v2, v9, v2, vcc
	v_cndmask_b32_e64 v15, -v15, v17, s[2:3]
	v_bitop3_b32 v14, v14, v15, s46 bitop3:0x6c
	v_cmp_class_f32_e64 s[2:3], v10, s47
	v_xor_b32_e32 v10, v11, v10
	v_lshl_add_u64 v[0:1], v[0:1], 0, s[8:9]
	v_cndmask_b32_e64 v15, v9, v14, s[2:3]
	v_mul_f32_e32 v14, v13, v13
	v_fmamk_f32 v17, v14, 0xb94c1982, v5
	v_fmaak_f32 v17, v14, v17, 0xbe2aaa9d
	v_mul_f32_e32 v17, v14, v17
	v_fmac_f32_e32 v13, v13, v17
	v_fmamk_f32 v17, v14, 0x37d75334, v6
	v_fmaak_f32 v17, v14, v17, 0x3d2aabf7
	v_fmaak_f32 v17, v14, v17, 0xbf000004
	v_fma_f32 v14, v14, v17, 1.0
	v_and_b32_e32 v17, 1, v12
	v_lshlrev_b32_e32 v12, 30, v12
	v_cmp_eq_u32_e64 s[4:5], 0, v17
	v_and_b32_e32 v12, 0x80000000, v12
	v_xor_b32_e32 v10, v10, v12
	v_cndmask_b32_e64 v13, v14, v13, s[4:5]
	v_xor_b32_e32 v10, v10, v13
	v_cndmask_b32_e64 v14, v9, v10, s[2:3]
	v_mul_f32_e32 v10, v24, v24
	v_fmamk_f32 v11, v10, 0xb94c1982, v5
	v_fmaak_f32 v11, v10, v11, 0xbe2aaa9d
	v_mul_f32_e32 v11, v10, v11
	v_fmac_f32_e32 v24, v24, v11
	v_fmamk_f32 v11, v10, 0x37d75334, v6
	v_fmaak_f32 v11, v10, v11, 0x3d2aabf7
	v_fmaak_f32 v11, v10, v11, 0xbf000004
	v_fma_f32 v10, v10, v11, 1.0
	v_and_b32_e32 v11, 1, v23
	v_cmp_eq_u32_e64 s[2:3], 0, v11
	v_lshlrev_b32_e32 v11, 30, v23
	v_pk_mul_f32 v[12:13], v[14:15], v[16:17] op_sel_hi:[1,0]
	v_cndmask_b32_e64 v10, -v24, v10, s[2:3]
	v_bitop3_b32 v10, v11, v10, s46 bitop3:0x6c
	v_cndmask_b32_e32 v10, v9, v10, vcc
	v_pk_mul_f32 v[22:23], v[14:15], v[2:3] op_sel_hi:[1,0]
	v_pk_mul_f32 v[28:29], v[12:13], v[10:11] op_sel_hi:[1,0]
	v_pk_fma_f32 v[30:31], v[12:13], v[10:11], v[22:23] op_sel:[0,0,1] op_sel_hi:[1,0,0]
	v_mul_f32_e32 v18, v4, v10
	s_add_i32 s2, s48, 64
	v_sub_f32_e32 v19, v28, v23
	v_mov_b32_e32 v20, v31
	s_waitcnt vmcnt(2)
	scratch_store_dwordx4 off, v[18:21], s2
	v_mul_f32_e32 v22, v4, v2
	s_add_i32 s3, s2, 16
	v_mov_b32_e32 v20, v15
	v_mov_b32_e32 v21, v14
	v_pk_mul_f32 v[10:11], v[20:21], v[10:11] op_sel_hi:[1,0]
	v_pk_mul_f32 v[18:19], v[12:13], v[2:3] op_sel_hi:[1,0]
	v_pk_fma_f32 v[12:13], v[12:13], v[2:3], v[10:11] op_sel_hi:[1,0,1] neg_lo:[0,0,1] neg_hi:[0,0,1]
	v_add_f32_e32 v23, v18, v10
	v_mov_b32_e32 v24, v13
	v_pk_mul_f32 v[10:11], v[14:15], v[4:5] op_sel_hi:[1,0]
	s_waitcnt vmcnt(2)
	scratch_store_dwordx4 off, v[22:25], s3
	s_add_i32 s2, s2, 32
	v_mov_b32_e32 v26, v11
	v_xor_b32_e32 v24, 0x80000000, v16
	v_mov_b32_e32 v25, v10
	s_waitcnt vmcnt(2)
	scratch_store_dwordx4 off, v[24:27], s2
	scratch_store_dword off, v3, s34
	s_add_i32 s48, s48, 48
	s_add_i32 s34, s34, 4
	s_cmpk_lg_i32 s48, 0x300
	s_cbranch_scc0 .LBB4_26
.LBB4_2:                                ; =>This Inner Loop Header: Depth=1
	v_lshl_add_u64 v[10:11], s[20:21], 0, v[0:1]
	global_load_dword v10, v[10:11], off
                                        ; implicit-def: $vgpr12
                                        ; implicit-def: $vgpr13
	s_waitcnt vmcnt(0)
	v_and_b32_e32 v11, 0x7fffffff, v10
	v_lshrrev_b32_e32 v2, 23, v11
	v_and_b32_e32 v4, 0x7fffff, v11
	v_cmp_nlt_f32_e64 s[10:11], |v10|, s35
	v_add_u32_e32 v16, 0xffffff88, v2
	v_or_b32_e32 v4, 0x800000, v4
	s_and_saveexec_b64 s[2:3], s[10:11]
	s_xor_b64 s[14:15], exec, s[2:3]
	s_cbranch_execz .LBB4_4
; %bb.3:                                ;   in Loop: Header=BB4_2 Depth=1
	v_cmp_lt_u32_e32 vcc, 63, v16
	s_nop 1
	v_cndmask_b32_e32 v2, 0, v7, vcc
	v_add_u32_e32 v2, v2, v16
	v_cmp_lt_u32_e64 s[2:3], 31, v2
	s_nop 1
	v_cndmask_b32_e64 v12, 0, v8, s[2:3]
	v_add_u32_e32 v2, v12, v2
	v_cmp_lt_u32_e64 s[4:5], 31, v2
	s_nop 1
	v_cndmask_b32_e64 v12, 0, v8, s[4:5]
	v_add_u32_e32 v17, v12, v2
	v_mad_u64_u32 v[12:13], s[6:7], v4, s36, 0
	v_mov_b32_e32 v2, v13
	v_mad_u64_u32 v[14:15], s[6:7], v4, s37, v[2:3]
	v_mov_b32_e32 v2, v15
	;; [unrolled: 2-line block ×6, first 2 shown]
	v_mad_u64_u32 v[26:27], s[6:7], v4, s42, v[2:3]
	v_cndmask_b32_e32 v13, v24, v20, vcc
	v_cndmask_b32_e32 v2, v26, v22, vcc
	;; [unrolled: 1-line block ×3, first 2 shown]
	v_cndmask_b32_e64 v15, v2, v13, s[2:3]
	v_cndmask_b32_e64 v2, v19, v2, s[2:3]
	v_cndmask_b32_e32 v19, v22, v18, vcc
	v_cndmask_b32_e64 v13, v13, v19, s[2:3]
	v_cndmask_b32_e32 v14, v20, v14, vcc
	v_cndmask_b32_e64 v2, v2, v15, s[4:5]
	v_cndmask_b32_e64 v15, v15, v13, s[4:5]
	v_sub_u32_e32 v21, 32, v17
	v_cmp_eq_u32_e64 s[6:7], 0, v17
	v_cndmask_b32_e64 v17, v19, v14, s[2:3]
	v_alignbit_b32 v22, v2, v15, v21
	v_cndmask_b32_e64 v13, v13, v17, s[4:5]
	v_cndmask_b32_e32 v12, v18, v12, vcc
	v_cndmask_b32_e64 v2, v22, v2, s[6:7]
	v_alignbit_b32 v19, v15, v13, v21
	v_cndmask_b32_e64 v12, v14, v12, s[2:3]
	v_cndmask_b32_e64 v15, v19, v15, s[6:7]
	v_bfe_u32 v22, v2, 29, 1
	v_cndmask_b32_e64 v12, v17, v12, s[4:5]
	v_alignbit_b32 v19, v2, v15, 30
	v_sub_u32_e32 v23, 0, v22
	v_alignbit_b32 v14, v13, v12, v21
	v_xor_b32_e32 v19, v19, v23
	v_cndmask_b32_e64 v13, v14, v13, s[6:7]
	v_alignbit_b32 v14, v15, v13, 30
	v_ffbh_u32_e32 v15, v19
	v_min_u32_e32 v15, 32, v15
	v_alignbit_b32 v12, v13, v12, 30
	v_xor_b32_e32 v14, v14, v23
	v_sub_u32_e32 v17, 31, v15
	v_xor_b32_e32 v12, v12, v23
	v_alignbit_b32 v18, v19, v14, v17
	v_alignbit_b32 v12, v14, v12, v17
	;; [unrolled: 1-line block ×3, first 2 shown]
	v_ffbh_u32_e32 v14, v13
	v_min_u32_e32 v14, 32, v14
	v_lshrrev_b32_e32 v20, 29, v2
	v_not_b32_e32 v17, v14
	v_alignbit_b32 v12, v13, v12, v17
	v_lshlrev_b32_e32 v13, 31, v20
	v_or_b32_e32 v17, 0x33000000, v13
	v_add_lshl_u32 v14, v14, v15, 23
	v_lshrrev_b32_e32 v12, 9, v12
	v_sub_u32_e32 v14, v17, v14
	v_or_b32_e32 v13, 0.5, v13
	v_lshlrev_b32_e32 v15, 23, v15
	v_or_b32_e32 v12, v14, v12
	v_lshrrev_b32_e32 v14, 9, v18
	v_sub_u32_e32 v13, v13, v15
	v_or_b32_e32 v13, v14, v13
	v_mul_f32_e32 v14, 0x3fc90fda, v13
	v_fma_f32 v15, v13, s43, -v14
	v_fmac_f32_e32 v15, 0x33a22168, v13
	v_fmac_f32_e32 v15, 0x3fc90fda, v12
	v_lshrrev_b32_e32 v2, 30, v2
	v_add_f32_e32 v13, v14, v15
	v_add_u32_e32 v12, v22, v2
.LBB4_4:                                ;   in Loop: Header=BB4_2 Depth=1
	s_or_saveexec_b64 s[2:3], s[14:15]
	v_mul_f32_e64 v2, |v10|, s44
	v_rndne_f32_e32 v2, v2
	s_xor_b64 exec, exec, s[2:3]
; %bb.5:                                ;   in Loop: Header=BB4_2 Depth=1
	v_cvt_i32_f32_e32 v12, v2
	v_fma_f32 v13, v2, s45, |v10|
	v_fmac_f32_e32 v13, 0xb3a22168, v2
	v_fmac_f32_e32 v13, 0xa7c234c4, v2
; %bb.6:                                ;   in Loop: Header=BB4_2 Depth=1
	s_or_b64 exec, exec, s[2:3]
                                        ; implicit-def: $vgpr14
                                        ; implicit-def: $vgpr15
	s_and_saveexec_b64 s[2:3], s[10:11]
	s_xor_b64 s[10:11], exec, s[2:3]
	s_cbranch_execz .LBB4_8
; %bb.7:                                ;   in Loop: Header=BB4_2 Depth=1
	v_cmp_lt_u32_e32 vcc, 63, v16
	s_nop 1
	v_cndmask_b32_e32 v2, 0, v7, vcc
	v_add_u32_e32 v2, v2, v16
	v_cmp_lt_u32_e64 s[2:3], 31, v2
	s_nop 1
	v_cndmask_b32_e64 v14, 0, v8, s[2:3]
	v_add_u32_e32 v2, v14, v2
	v_cmp_lt_u32_e64 s[4:5], 31, v2
	s_nop 1
	v_cndmask_b32_e64 v14, 0, v8, s[4:5]
	v_add_u32_e32 v28, v14, v2
	v_mad_u64_u32 v[14:15], s[6:7], v4, s36, 0
	v_mov_b32_e32 v2, v15
	v_mad_u64_u32 v[16:17], s[6:7], v4, s37, v[2:3]
	v_mov_b32_e32 v2, v17
	;; [unrolled: 2-line block ×6, first 2 shown]
	v_mad_u64_u32 v[26:27], s[6:7], v4, s42, v[2:3]
	v_cndmask_b32_e32 v15, v24, v20, vcc
	v_cndmask_b32_e32 v2, v26, v22, vcc
	;; [unrolled: 1-line block ×3, first 2 shown]
	v_cndmask_b32_e64 v4, v2, v15, s[2:3]
	v_cndmask_b32_e64 v2, v17, v2, s[2:3]
	v_cndmask_b32_e32 v17, v22, v18, vcc
	v_cndmask_b32_e64 v15, v15, v17, s[2:3]
	v_cndmask_b32_e32 v16, v20, v16, vcc
	v_cndmask_b32_e64 v2, v2, v4, s[4:5]
	v_cndmask_b32_e64 v4, v4, v15, s[4:5]
	v_sub_u32_e32 v19, 32, v28
	v_cndmask_b32_e64 v17, v17, v16, s[2:3]
	v_alignbit_b32 v21, v2, v4, v19
	v_cmp_eq_u32_e64 s[6:7], 0, v28
	v_cndmask_b32_e64 v15, v15, v17, s[4:5]
	v_alignbit_b32 v20, v4, v15, v19
	v_cndmask_b32_e64 v2, v21, v2, s[6:7]
	v_cndmask_b32_e32 v14, v18, v14, vcc
	v_cndmask_b32_e64 v4, v20, v4, s[6:7]
	v_bfe_u32 v22, v2, 29, 1
	v_cndmask_b32_e64 v14, v16, v14, s[2:3]
	v_alignbit_b32 v20, v2, v4, 30
	v_sub_u32_e32 v23, 0, v22
	v_cndmask_b32_e64 v14, v17, v14, s[4:5]
	v_xor_b32_e32 v20, v20, v23
	v_alignbit_b32 v16, v15, v14, v19
	v_cndmask_b32_e64 v15, v16, v15, s[6:7]
	v_ffbh_u32_e32 v16, v20
	v_alignbit_b32 v4, v4, v15, 30
	v_min_u32_e32 v16, 32, v16
	v_alignbit_b32 v14, v15, v14, 30
	v_xor_b32_e32 v4, v4, v23
	v_sub_u32_e32 v17, 31, v16
	v_xor_b32_e32 v14, v14, v23
	v_alignbit_b32 v18, v20, v4, v17
	v_alignbit_b32 v4, v4, v14, v17
	;; [unrolled: 1-line block ×3, first 2 shown]
	v_ffbh_u32_e32 v15, v14
	v_min_u32_e32 v15, 32, v15
	v_lshrrev_b32_e32 v21, 29, v2
	v_not_b32_e32 v17, v15
	v_alignbit_b32 v4, v14, v4, v17
	v_lshlrev_b32_e32 v14, 31, v21
	v_or_b32_e32 v17, 0x33000000, v14
	v_add_lshl_u32 v15, v15, v16, 23
	v_lshrrev_b32_e32 v4, 9, v4
	v_sub_u32_e32 v15, v17, v15
	v_or_b32_e32 v14, 0.5, v14
	v_lshlrev_b32_e32 v16, 23, v16
	v_or_b32_e32 v4, v15, v4
	v_lshrrev_b32_e32 v15, 9, v18
	v_sub_u32_e32 v14, v14, v16
	v_or_b32_e32 v14, v15, v14
	v_mul_f32_e32 v15, 0x3fc90fda, v14
	v_fma_f32 v16, v14, s43, -v15
	v_fmac_f32_e32 v16, 0x33a22168, v14
	v_fmac_f32_e32 v16, 0x3fc90fda, v4
	v_lshrrev_b32_e32 v2, 30, v2
	v_add_f32_e32 v15, v15, v16
	v_add_u32_e32 v14, v22, v2
                                        ; implicit-def: $vgpr2
	s_andn2_saveexec_b64 s[2:3], s[10:11]
	s_cbranch_execnz .LBB4_9
	s_branch .LBB4_10
.LBB4_8:                                ;   in Loop: Header=BB4_2 Depth=1
	s_andn2_saveexec_b64 s[2:3], s[10:11]
.LBB4_9:                                ;   in Loop: Header=BB4_2 Depth=1
	v_cvt_i32_f32_e32 v14, v2
	v_fma_f32 v15, v2, s45, |v10|
	v_fmac_f32_e32 v15, 0xb3a22168, v2
	v_fmac_f32_e32 v15, 0xa7c234c4, v2
.LBB4_10:                               ;   in Loop: Header=BB4_2 Depth=1
	s_or_b64 exec, exec, s[2:3]
	v_lshl_add_u64 v[16:17], s[22:23], 0, v[0:1]
	global_load_dword v16, v[16:17], off
                                        ; implicit-def: $vgpr18
                                        ; implicit-def: $vgpr19
	s_waitcnt vmcnt(0)
	v_and_b32_e32 v17, 0x7fffffff, v16
	v_lshrrev_b32_e32 v2, 23, v17
	v_and_b32_e32 v4, 0x7fffff, v17
	v_cmp_nlt_f32_e64 s[10:11], |v16|, s35
	v_add_u32_e32 v22, 0xffffff88, v2
	v_or_b32_e32 v21, 0x800000, v4
	s_and_saveexec_b64 s[2:3], s[10:11]
	s_xor_b64 s[14:15], exec, s[2:3]
	s_cbranch_execz .LBB4_12
; %bb.11:                               ;   in Loop: Header=BB4_2 Depth=1
	v_cmp_lt_u32_e32 vcc, 63, v22
	v_mad_u64_u32 v[18:19], s[6:7], v21, s36, 0
	s_nop 0
	v_cndmask_b32_e32 v2, 0, v7, vcc
	v_add_u32_e32 v2, v2, v22
	v_cmp_lt_u32_e64 s[2:3], 31, v2
	s_nop 1
	v_cndmask_b32_e64 v4, 0, v8, s[2:3]
	v_add_u32_e32 v2, v4, v2
	v_cmp_lt_u32_e64 s[4:5], 31, v2
	s_nop 1
	v_cndmask_b32_e64 v4, 0, v8, s[4:5]
	v_add_u32_e32 v4, v4, v2
	v_mov_b32_e32 v2, v19
	v_mad_u64_u32 v[24:25], s[6:7], v21, s37, v[2:3]
	v_mov_b32_e32 v2, v25
	v_mad_u64_u32 v[26:27], s[6:7], v21, s38, v[2:3]
	;; [unrolled: 2-line block ×6, first 2 shown]
	v_cndmask_b32_e32 v19, v32, v28, vcc
	v_cndmask_b32_e32 v2, v34, v30, vcc
	v_cndmask_b32_e32 v23, v35, v32, vcc
	v_cndmask_b32_e64 v20, v2, v19, s[2:3]
	v_cndmask_b32_e64 v2, v23, v2, s[2:3]
	v_cndmask_b32_e32 v23, v30, v26, vcc
	v_cndmask_b32_e64 v19, v19, v23, s[2:3]
	v_sub_u32_e32 v25, 32, v4
	v_cmp_eq_u32_e64 s[6:7], 0, v4
	v_cndmask_b32_e32 v4, v28, v24, vcc
	v_cndmask_b32_e64 v2, v2, v20, s[4:5]
	v_cndmask_b32_e64 v20, v20, v19, s[4:5]
	;; [unrolled: 1-line block ×3, first 2 shown]
	v_alignbit_b32 v27, v2, v20, v25
	v_cndmask_b32_e64 v19, v19, v23, s[4:5]
	v_cndmask_b32_e32 v18, v26, v18, vcc
	v_cndmask_b32_e64 v2, v27, v2, s[6:7]
	v_alignbit_b32 v24, v20, v19, v25
	v_cndmask_b32_e64 v4, v4, v18, s[2:3]
	v_cndmask_b32_e64 v20, v24, v20, s[6:7]
	v_bfe_u32 v28, v2, 29, 1
	v_cndmask_b32_e64 v4, v23, v4, s[4:5]
	v_alignbit_b32 v24, v2, v20, 30
	v_sub_u32_e32 v29, 0, v28
	v_alignbit_b32 v18, v19, v4, v25
	v_xor_b32_e32 v24, v24, v29
	v_cndmask_b32_e64 v18, v18, v19, s[6:7]
	v_alignbit_b32 v19, v20, v18, 30
	v_ffbh_u32_e32 v20, v24
	v_min_u32_e32 v20, 32, v20
	v_alignbit_b32 v4, v18, v4, 30
	v_xor_b32_e32 v19, v19, v29
	v_sub_u32_e32 v23, 31, v20
	v_xor_b32_e32 v4, v4, v29
	v_alignbit_b32 v24, v24, v19, v23
	v_alignbit_b32 v4, v19, v4, v23
	;; [unrolled: 1-line block ×3, first 2 shown]
	v_ffbh_u32_e32 v19, v18
	v_min_u32_e32 v19, 32, v19
	v_lshrrev_b32_e32 v27, 29, v2
	v_not_b32_e32 v23, v19
	v_alignbit_b32 v4, v18, v4, v23
	v_lshlrev_b32_e32 v18, 31, v27
	v_or_b32_e32 v23, 0x33000000, v18
	v_add_lshl_u32 v19, v19, v20, 23
	v_lshrrev_b32_e32 v4, 9, v4
	v_sub_u32_e32 v19, v23, v19
	v_or_b32_e32 v18, 0.5, v18
	v_lshlrev_b32_e32 v20, 23, v20
	v_or_b32_e32 v4, v19, v4
	v_lshrrev_b32_e32 v19, 9, v24
	v_sub_u32_e32 v18, v18, v20
	v_or_b32_e32 v18, v19, v18
	v_mul_f32_e32 v19, 0x3fc90fda, v18
	v_fma_f32 v20, v18, s43, -v19
	v_fmac_f32_e32 v20, 0x33a22168, v18
	v_fmac_f32_e32 v20, 0x3fc90fda, v4
	v_lshrrev_b32_e32 v2, 30, v2
	v_add_f32_e32 v19, v19, v20
	v_add_u32_e32 v18, v28, v2
.LBB4_12:                               ;   in Loop: Header=BB4_2 Depth=1
	s_or_saveexec_b64 s[2:3], s[14:15]
	v_mul_f32_e64 v2, |v16|, s44
	v_rndne_f32_e32 v2, v2
	s_xor_b64 exec, exec, s[2:3]
; %bb.13:                               ;   in Loop: Header=BB4_2 Depth=1
	v_cvt_i32_f32_e32 v18, v2
	v_fma_f32 v19, v2, s45, |v16|
	v_fmac_f32_e32 v19, 0xb3a22168, v2
	v_fmac_f32_e32 v19, 0xa7c234c4, v2
; %bb.14:                               ;   in Loop: Header=BB4_2 Depth=1
	s_or_b64 exec, exec, s[2:3]
                                        ; implicit-def: $vgpr4
                                        ; implicit-def: $vgpr20
	s_and_saveexec_b64 s[2:3], s[10:11]
	s_xor_b64 s[10:11], exec, s[2:3]
	s_cbranch_execz .LBB4_16
; %bb.15:                               ;   in Loop: Header=BB4_2 Depth=1
	v_cmp_lt_u32_e32 vcc, 63, v22
	s_nop 1
	v_cndmask_b32_e32 v2, 0, v7, vcc
	v_add_u32_e32 v2, v2, v22
	v_cmp_lt_u32_e64 s[2:3], 31, v2
	v_mad_u64_u32 v[22:23], s[6:7], v21, s36, 0
	s_nop 0
	v_cndmask_b32_e64 v4, 0, v8, s[2:3]
	v_add_u32_e32 v2, v4, v2
	v_cmp_lt_u32_e64 s[4:5], 31, v2
	s_nop 1
	v_cndmask_b32_e64 v4, 0, v8, s[4:5]
	v_add_u32_e32 v4, v4, v2
	v_mov_b32_e32 v2, v23
	v_mad_u64_u32 v[24:25], s[6:7], v21, s37, v[2:3]
	v_mov_b32_e32 v2, v25
	v_mad_u64_u32 v[26:27], s[6:7], v21, s38, v[2:3]
	;; [unrolled: 2-line block ×6, first 2 shown]
	v_cndmask_b32_e32 v23, v32, v28, vcc
	v_cndmask_b32_e32 v2, v20, v30, vcc
	;; [unrolled: 1-line block ×3, first 2 shown]
	v_cndmask_b32_e64 v20, v2, v23, s[2:3]
	v_cndmask_b32_e64 v2, v21, v2, s[2:3]
	v_cndmask_b32_e32 v21, v30, v26, vcc
	v_cndmask_b32_e64 v23, v23, v21, s[2:3]
	v_sub_u32_e32 v25, 32, v4
	v_cmp_eq_u32_e64 s[6:7], 0, v4
	v_cndmask_b32_e32 v4, v28, v24, vcc
	v_cndmask_b32_e64 v2, v2, v20, s[4:5]
	v_cndmask_b32_e64 v20, v20, v23, s[4:5]
	v_cndmask_b32_e64 v21, v21, v4, s[2:3]
	v_alignbit_b32 v27, v2, v20, v25
	v_cndmask_b32_e64 v23, v23, v21, s[4:5]
	v_cndmask_b32_e64 v2, v27, v2, s[6:7]
	v_alignbit_b32 v24, v20, v23, v25
	v_cndmask_b32_e32 v22, v26, v22, vcc
	v_cndmask_b32_e64 v20, v24, v20, s[6:7]
	v_bfe_u32 v28, v2, 29, 1
	v_cndmask_b32_e64 v4, v4, v22, s[2:3]
	v_alignbit_b32 v24, v2, v20, 30
	v_sub_u32_e32 v29, 0, v28
	v_cndmask_b32_e64 v4, v21, v4, s[4:5]
	v_xor_b32_e32 v24, v24, v29
	v_alignbit_b32 v21, v23, v4, v25
	v_cndmask_b32_e64 v21, v21, v23, s[6:7]
	v_ffbh_u32_e32 v22, v24
	v_alignbit_b32 v20, v20, v21, 30
	v_min_u32_e32 v22, 32, v22
	v_alignbit_b32 v4, v21, v4, 30
	v_xor_b32_e32 v20, v20, v29
	v_sub_u32_e32 v23, 31, v22
	v_xor_b32_e32 v4, v4, v29
	v_alignbit_b32 v24, v24, v20, v23
	v_alignbit_b32 v4, v20, v4, v23
	;; [unrolled: 1-line block ×3, first 2 shown]
	v_ffbh_u32_e32 v21, v20
	v_min_u32_e32 v21, 32, v21
	v_lshrrev_b32_e32 v27, 29, v2
	v_not_b32_e32 v23, v21
	v_alignbit_b32 v4, v20, v4, v23
	v_lshlrev_b32_e32 v20, 31, v27
	v_or_b32_e32 v23, 0x33000000, v20
	v_add_lshl_u32 v21, v21, v22, 23
	v_lshrrev_b32_e32 v4, 9, v4
	v_sub_u32_e32 v21, v23, v21
	v_or_b32_e32 v20, 0.5, v20
	v_lshlrev_b32_e32 v22, 23, v22
	v_or_b32_e32 v4, v21, v4
	v_lshrrev_b32_e32 v21, 9, v24
	v_sub_u32_e32 v20, v20, v22
	v_or_b32_e32 v20, v21, v20
	v_mul_f32_e32 v21, 0x3fc90fda, v20
	v_fma_f32 v22, v20, s43, -v21
	v_fmac_f32_e32 v22, 0x33a22168, v20
	v_fmac_f32_e32 v22, 0x3fc90fda, v4
	v_lshrrev_b32_e32 v2, 30, v2
	v_add_f32_e32 v20, v21, v22
	v_add_u32_e32 v4, v28, v2
                                        ; implicit-def: $vgpr2
	s_andn2_saveexec_b64 s[2:3], s[10:11]
	s_cbranch_execnz .LBB4_17
	s_branch .LBB4_18
.LBB4_16:                               ;   in Loop: Header=BB4_2 Depth=1
	s_andn2_saveexec_b64 s[2:3], s[10:11]
.LBB4_17:                               ;   in Loop: Header=BB4_2 Depth=1
	v_cvt_i32_f32_e32 v4, v2
	v_fma_f32 v20, v2, s45, |v16|
	v_fmac_f32_e32 v20, 0xb3a22168, v2
	v_fmac_f32_e32 v20, 0xa7c234c4, v2
.LBB4_18:                               ;   in Loop: Header=BB4_2 Depth=1
	s_or_b64 exec, exec, s[2:3]
	v_lshl_add_u64 v[22:23], s[24:25], 0, v[0:1]
	global_load_dword v21, v[22:23], off
                                        ; implicit-def: $vgpr25
                                        ; implicit-def: $vgpr26
	s_waitcnt vmcnt(0)
	v_and_b32_e32 v22, 0x7fffffff, v21
	v_lshrrev_b32_e32 v2, 23, v22
	v_and_b32_e32 v23, 0x7fffff, v22
	v_cmp_nlt_f32_e64 s[10:11], |v21|, s35
	v_add_u32_e32 v28, 0xffffff88, v2
	v_or_b32_e32 v27, 0x800000, v23
	s_and_saveexec_b64 s[2:3], s[10:11]
	s_xor_b64 s[14:15], exec, s[2:3]
	s_cbranch_execz .LBB4_20
; %bb.19:                               ;   in Loop: Header=BB4_2 Depth=1
	v_cmp_lt_u32_e32 vcc, 63, v28
	v_mad_u64_u32 v[24:25], s[6:7], v27, s36, 0
	s_nop 0
	v_cndmask_b32_e32 v2, 0, v7, vcc
	v_add_u32_e32 v2, v2, v28
	v_cmp_lt_u32_e64 s[2:3], 31, v2
	s_nop 1
	v_cndmask_b32_e64 v23, 0, v8, s[2:3]
	v_add_u32_e32 v2, v23, v2
	v_cmp_lt_u32_e64 s[4:5], 31, v2
	s_nop 1
	v_cndmask_b32_e64 v23, 0, v8, s[4:5]
	v_add_u32_e32 v23, v23, v2
	v_mov_b32_e32 v2, v25
	v_mad_u64_u32 v[30:31], s[6:7], v27, s37, v[2:3]
	v_mov_b32_e32 v2, v31
	v_mad_u64_u32 v[32:33], s[6:7], v27, s38, v[2:3]
	;; [unrolled: 2-line block ×6, first 2 shown]
	v_cndmask_b32_e32 v25, v38, v34, vcc
	v_cndmask_b32_e32 v2, v40, v36, vcc
	;; [unrolled: 1-line block ×3, first 2 shown]
	v_cndmask_b32_e64 v26, v2, v25, s[2:3]
	v_cndmask_b32_e64 v2, v29, v2, s[2:3]
	v_cndmask_b32_e32 v29, v36, v32, vcc
	v_cndmask_b32_e64 v25, v25, v29, s[2:3]
	v_sub_u32_e32 v31, 32, v23
	v_cmp_eq_u32_e64 s[6:7], 0, v23
	v_cndmask_b32_e32 v23, v34, v30, vcc
	v_cndmask_b32_e64 v2, v2, v26, s[4:5]
	v_cndmask_b32_e64 v26, v26, v25, s[4:5]
	v_cndmask_b32_e64 v29, v29, v23, s[2:3]
	v_alignbit_b32 v33, v2, v26, v31
	v_cndmask_b32_e64 v25, v25, v29, s[4:5]
	v_cndmask_b32_e32 v24, v32, v24, vcc
	v_cndmask_b32_e64 v2, v33, v2, s[6:7]
	v_alignbit_b32 v30, v26, v25, v31
	v_cndmask_b32_e64 v23, v23, v24, s[2:3]
	v_cndmask_b32_e64 v26, v30, v26, s[6:7]
	v_bfe_u32 v34, v2, 29, 1
	v_cndmask_b32_e64 v23, v29, v23, s[4:5]
	v_alignbit_b32 v30, v2, v26, 30
	v_sub_u32_e32 v35, 0, v34
	v_alignbit_b32 v24, v25, v23, v31
	v_xor_b32_e32 v30, v30, v35
	v_cndmask_b32_e64 v24, v24, v25, s[6:7]
	v_alignbit_b32 v25, v26, v24, 30
	v_ffbh_u32_e32 v26, v30
	v_min_u32_e32 v26, 32, v26
	v_alignbit_b32 v23, v24, v23, 30
	v_xor_b32_e32 v25, v25, v35
	v_sub_u32_e32 v29, 31, v26
	v_xor_b32_e32 v23, v23, v35
	v_alignbit_b32 v30, v30, v25, v29
	v_alignbit_b32 v23, v25, v23, v29
	;; [unrolled: 1-line block ×3, first 2 shown]
	v_ffbh_u32_e32 v25, v24
	v_min_u32_e32 v25, 32, v25
	v_lshrrev_b32_e32 v33, 29, v2
	v_not_b32_e32 v29, v25
	v_alignbit_b32 v23, v24, v23, v29
	v_lshlrev_b32_e32 v24, 31, v33
	v_or_b32_e32 v29, 0x33000000, v24
	v_add_lshl_u32 v25, v25, v26, 23
	v_lshrrev_b32_e32 v23, 9, v23
	v_sub_u32_e32 v25, v29, v25
	v_or_b32_e32 v24, 0.5, v24
	v_lshlrev_b32_e32 v26, 23, v26
	v_or_b32_e32 v23, v25, v23
	v_lshrrev_b32_e32 v25, 9, v30
	v_sub_u32_e32 v24, v24, v26
	v_or_b32_e32 v24, v25, v24
	v_mul_f32_e32 v25, 0x3fc90fda, v24
	v_fma_f32 v26, v24, s43, -v25
	v_fmac_f32_e32 v26, 0x33a22168, v24
	v_fmac_f32_e32 v26, 0x3fc90fda, v23
	v_lshrrev_b32_e32 v2, 30, v2
	v_add_f32_e32 v26, v25, v26
	v_add_u32_e32 v25, v34, v2
.LBB4_20:                               ;   in Loop: Header=BB4_2 Depth=1
	s_or_saveexec_b64 s[2:3], s[14:15]
	v_mul_f32_e64 v2, |v21|, s44
	v_rndne_f32_e32 v2, v2
	s_xor_b64 exec, exec, s[2:3]
; %bb.21:                               ;   in Loop: Header=BB4_2 Depth=1
	v_cvt_i32_f32_e32 v25, v2
	v_fma_f32 v26, v2, s45, |v21|
	v_fmac_f32_e32 v26, 0xb3a22168, v2
	v_fmac_f32_e32 v26, 0xa7c234c4, v2
; %bb.22:                               ;   in Loop: Header=BB4_2 Depth=1
	s_or_b64 exec, exec, s[2:3]
                                        ; implicit-def: $vgpr23
                                        ; implicit-def: $vgpr24
	s_and_saveexec_b64 s[2:3], s[10:11]
	s_xor_b64 s[10:11], exec, s[2:3]
	s_cbranch_execz .LBB4_24
; %bb.23:                               ;   in Loop: Header=BB4_2 Depth=1
	v_cmp_lt_u32_e32 vcc, 63, v28
	s_nop 1
	v_cndmask_b32_e32 v2, 0, v7, vcc
	v_add_u32_e32 v2, v2, v28
	v_cmp_lt_u32_e64 s[2:3], 31, v2
	v_mad_u64_u32 v[28:29], s[6:7], v27, s36, 0
	s_nop 0
	v_cndmask_b32_e64 v23, 0, v8, s[2:3]
	v_add_u32_e32 v2, v23, v2
	v_cmp_lt_u32_e64 s[4:5], 31, v2
	s_nop 1
	v_cndmask_b32_e64 v23, 0, v8, s[4:5]
	v_add_u32_e32 v23, v23, v2
	v_mov_b32_e32 v2, v29
	v_mad_u64_u32 v[30:31], s[6:7], v27, s37, v[2:3]
	v_mov_b32_e32 v2, v31
	v_mad_u64_u32 v[32:33], s[6:7], v27, s38, v[2:3]
	;; [unrolled: 2-line block ×6, first 2 shown]
	v_cndmask_b32_e32 v24, v38, v34, vcc
	v_cndmask_b32_e32 v2, v40, v36, vcc
	;; [unrolled: 1-line block ×3, first 2 shown]
	v_cndmask_b32_e64 v27, v2, v24, s[2:3]
	v_cndmask_b32_e64 v2, v29, v2, s[2:3]
	v_cndmask_b32_e32 v29, v36, v32, vcc
	v_cndmask_b32_e64 v24, v24, v29, s[2:3]
	v_sub_u32_e32 v31, 32, v23
	v_cmp_eq_u32_e64 s[6:7], 0, v23
	v_cndmask_b32_e32 v23, v34, v30, vcc
	v_cndmask_b32_e64 v2, v2, v27, s[4:5]
	v_cndmask_b32_e64 v27, v27, v24, s[4:5]
	;; [unrolled: 1-line block ×3, first 2 shown]
	v_alignbit_b32 v33, v2, v27, v31
	v_cndmask_b32_e64 v24, v24, v29, s[4:5]
	v_cndmask_b32_e64 v2, v33, v2, s[6:7]
	v_alignbit_b32 v30, v27, v24, v31
	v_cndmask_b32_e32 v28, v32, v28, vcc
	v_cndmask_b32_e64 v27, v30, v27, s[6:7]
	v_bfe_u32 v34, v2, 29, 1
	v_cndmask_b32_e64 v23, v23, v28, s[2:3]
	v_alignbit_b32 v30, v2, v27, 30
	v_sub_u32_e32 v35, 0, v34
	v_cndmask_b32_e64 v23, v29, v23, s[4:5]
	v_xor_b32_e32 v30, v30, v35
	v_alignbit_b32 v28, v24, v23, v31
	v_cndmask_b32_e64 v24, v28, v24, s[6:7]
	v_ffbh_u32_e32 v28, v30
	v_alignbit_b32 v27, v27, v24, 30
	v_min_u32_e32 v28, 32, v28
	v_alignbit_b32 v23, v24, v23, 30
	v_xor_b32_e32 v27, v27, v35
	v_sub_u32_e32 v29, 31, v28
	v_xor_b32_e32 v23, v23, v35
	v_alignbit_b32 v30, v30, v27, v29
	v_alignbit_b32 v23, v27, v23, v29
	;; [unrolled: 1-line block ×3, first 2 shown]
	v_ffbh_u32_e32 v27, v24
	v_min_u32_e32 v27, 32, v27
	v_lshrrev_b32_e32 v33, 29, v2
	v_not_b32_e32 v29, v27
	v_alignbit_b32 v23, v24, v23, v29
	v_lshlrev_b32_e32 v24, 31, v33
	v_or_b32_e32 v29, 0x33000000, v24
	v_add_lshl_u32 v27, v27, v28, 23
	v_lshrrev_b32_e32 v23, 9, v23
	v_sub_u32_e32 v27, v29, v27
	v_or_b32_e32 v24, 0.5, v24
	v_lshlrev_b32_e32 v28, 23, v28
	v_or_b32_e32 v23, v27, v23
	v_lshrrev_b32_e32 v27, 9, v30
	v_sub_u32_e32 v24, v24, v28
	v_or_b32_e32 v24, v27, v24
	v_mul_f32_e32 v27, 0x3fc90fda, v24
	v_fma_f32 v28, v24, s43, -v27
	v_fmac_f32_e32 v28, 0x33a22168, v24
	v_fmac_f32_e32 v28, 0x3fc90fda, v23
	v_lshrrev_b32_e32 v2, 30, v2
	v_add_f32_e32 v24, v27, v28
	v_add_u32_e32 v23, v34, v2
                                        ; implicit-def: $vgpr2
	s_andn2_saveexec_b64 s[2:3], s[10:11]
	s_cbranch_execz .LBB4_1
	s_branch .LBB4_25
.LBB4_24:                               ;   in Loop: Header=BB4_2 Depth=1
	s_andn2_saveexec_b64 s[2:3], s[10:11]
	s_cbranch_execz .LBB4_1
.LBB4_25:                               ;   in Loop: Header=BB4_2 Depth=1
	v_cvt_i32_f32_e32 v23, v2
	v_fma_f32 v24, v2, s45, |v21|
	v_fmac_f32_e32 v24, 0xb3a22168, v2
	v_fmac_f32_e32 v24, 0xa7c234c4, v2
	s_branch .LBB4_1
.LBB4_26:
	scratch_load_dwordx4 v[0:3], off, off offset:400
	scratch_load_dwordx4 v[4:7], off, off offset:432
	;; [unrolled: 1-line block ×16, first 2 shown]
	s_load_dwordx2 s[2:3], s[0:1], 0x0
	s_load_dwordx4 s[20:23], s[0:1], 0x48
	scratch_load_dwordx4 v[64:67], off, off offset:80
	s_mov_b32 s27, 0
	s_movk_i32 s37, 0x46
	s_waitcnt lgkmcnt(0)
	s_max_i32 s29, s3, 1
	s_max_i32 s36, s2, 1
	s_add_u32 s24, s16, 8
	s_addc_u32 s25, s17, 0
	s_movk_i32 s38, 0x45
	s_mov_b32 s39, 0xf800000
	s_mov_b32 s28, 0x42340000
	;; [unrolled: 1-line block ×3, first 2 shown]
	v_mov_b32_e32 v115, 0x42980000
	s_waitcnt vmcnt(16)
	v_mov_b32_e32 v108, v3
	s_waitcnt vmcnt(15)
	v_mov_b32_e32 v3, v6
	v_mov_b32_e32 v124, v0
	;; [unrolled: 1-line block ×4, first 2 shown]
	scratch_store_dwordx4 off, v[0:3], off offset:832 ; 16-byte Folded Spill
	scratch_store_dwordx4 off, v[4:7], off offset:848 ; 16-byte Folded Spill
	v_mov_b32_e32 v109, v7
	s_waitcnt vmcnt(16)
	v_mov_b32_e32 v0, v11
	s_waitcnt vmcnt(15)
	v_mov_b32_e32 v1, v15
	scratch_store_dwordx2 off, v[0:1], off offset:1216 ; 8-byte Folded Spill
	v_mov_b32_e32 v0, v8
	v_mov_b32_e32 v1, v12
	scratch_store_dwordx2 off, v[0:1], off offset:1224 ; 8-byte Folded Spill
	s_waitcnt vmcnt(16)
	v_mov_b32_e32 v0, v19
	s_waitcnt vmcnt(15)
	v_mov_b32_e32 v1, v23
	scratch_store_dwordx2 off, v[0:1], off offset:1232 ; 8-byte Folded Spill
	s_waitcnt vmcnt(5)
	scratch_store_dwordx4 off, v[64:67], off offset:1088 ; 16-byte Folded Spill
	scratch_load_dwordx4 v[64:67], off, off offset:128
	v_mov_b32_e32 v0, v16
	v_mov_b32_e32 v1, v20
	scratch_store_dwordx2 off, v[0:1], off offset:1240 ; 8-byte Folded Spill
	v_mov_b32_e32 v0, v27
	v_mov_b32_e32 v1, v31
	scratch_store_dwordx2 off, v[0:1], off offset:1248 ; 8-byte Folded Spill
	;; [unrolled: 3-line block ×9, first 2 shown]
	v_mov_b32_e32 v0, v59
	v_mov_b32_e32 v1, v63
	v_mov_b32_e32 v12, v9
	v_mov_b32_e32 v11, v14
	v_mov_b32_e32 v20, v17
	v_mov_b32_e32 v19, v22
	v_mov_b32_e32 v28, v25
	v_mov_b32_e32 v27, v30
	v_mov_b32_e32 v36, v33
	v_mov_b32_e32 v35, v38
	v_mov_b32_e32 v44, v41
	v_mov_b32_e32 v43, v46
	v_mov_b32_e32 v52, v49
	v_mov_b32_e32 v51, v54
	scratch_store_dwordx2 off, v[0:1], off offset:1312 ; 8-byte Folded Spill
	v_mov_b32_e32 v0, v56
	v_mov_b32_e32 v1, v60
	;; [unrolled: 1-line block ×4, first 2 shown]
	scratch_store_dwordx4 off, v[12:15], off offset:880 ; 16-byte Folded Spill
	scratch_store_dwordx4 off, v[8:11], off offset:864 ; 16-byte Folded Spill
	;; [unrolled: 1-line block ×12, first 2 shown]
	scratch_store_dwordx2 off, v[0:1], off offset:1320 ; 8-byte Folded Spill
	scratch_store_dwordx4 off, v[60:63], off offset:1072 ; 16-byte Folded Spill
	scratch_store_dwordx4 off, v[56:59], off offset:1056 ; 16-byte Folded Spill
	v_mov_b32_e32 v47, 0
	v_mov_b32_e32 v53, 0x260
	s_waitcnt vmcnt(25)
	scratch_store_dwordx4 off, v[64:67], off offset:1104 ; 16-byte Folded Spill
	scratch_load_dwordx4 v[64:67], off, off offset:176
	s_waitcnt vmcnt(0)
	scratch_store_dwordx4 off, v[64:67], off offset:1120 ; 16-byte Folded Spill
	scratch_load_dwordx4 v[64:67], off, off offset:224
	;; [unrolled: 3-line block ×7, first 2 shown]
	scratch_load_dwordx4 v[4:7], off, off offset:464
	s_waitcnt vmcnt(0)
	scratch_store_dwordx4 off, v[4:7], off offset:1344 ; 16-byte Folded Spill
	scratch_load_dwordx4 v[6:9], off, off offset:480
	s_nop 0
	scratch_load_dwordx4 v[10:13], off, off offset:496
	v_mov_b32_e32 v4, v0
	s_waitcnt vmcnt(1)
	v_mov_b32_e32 v5, v6
	v_mov_b32_e32 v6, v1
	v_mov_b64_e32 v[0:1], v[6:7]
	scratch_store_dwordx2 off, v[4:5], off offset:1360 ; 8-byte Folded Spill
	v_mov_b32_e32 v4, v3
	v_mov_b32_e32 v5, v9
	scratch_store_dwordx4 off, v[0:3], off offset:1368 ; 16-byte Folded Spill
	scratch_store_dwordx2 off, v[4:5], off offset:1400 ; 8-byte Folded Spill
	s_nop 0
	v_mov_b32_e32 v3, v8
	scratch_store_dwordx4 off, v[0:3], off offset:1328 ; 16-byte Folded Spill
	scratch_load_dwordx4 v[2:5], off, off offset:528
	s_nop 0
	scratch_load_dwordx4 v[6:9], off, off offset:512
	s_waitcnt vmcnt(6)
	v_mov_b32_e32 v0, v10
	s_waitcnt vmcnt(1)
	v_mov_b32_e32 v1, v2
	scratch_store_dwordx2 off, v[0:1], off offset:1408 ; 8-byte Folded Spill
	v_mov_b32_e32 v0, v13
	v_mov_b32_e32 v1, v5
	v_mov_b32_e32 v2, v11
	scratch_store_dwordx2 off, v[0:1], off offset:1448 ; 8-byte Folded Spill
	v_mov_b64_e32 v[0:1], v[2:3]
	v_mov_b32_e32 v13, v4
	s_waitcnt vmcnt(2)
	scratch_store_dwordx4 off, v[6:9], off offset:1432 ; 16-byte Folded Spill
	scratch_store_dwordx4 off, v[0:3], off offset:1416 ; 16-byte Folded Spill
	scratch_store_dwordx4 off, v[10:13], off offset:1384 ; 16-byte Folded Spill
	scratch_load_dwordx4 v[0:3], off, off offset:544
	s_nop 0
	scratch_load_dwordx4 v[4:7], off, off offset:560
	s_waitcnt vmcnt(0)
	scratch_store_dwordx4 off, v[4:7], off offset:1472 ; 16-byte Folded Spill
	scratch_load_dwordx4 v[6:9], off, off offset:576
	s_nop 0
	scratch_load_dwordx4 v[10:13], off, off offset:592
	v_mov_b32_e32 v4, v0
	s_waitcnt vmcnt(1)
	v_mov_b32_e32 v5, v6
	v_mov_b32_e32 v6, v1
	v_mov_b64_e32 v[0:1], v[6:7]
	scratch_store_dwordx2 off, v[4:5], off offset:1488 ; 8-byte Folded Spill
	v_mov_b32_e32 v4, v3
	v_mov_b32_e32 v5, v9
	scratch_store_dwordx4 off, v[0:3], off offset:1496 ; 16-byte Folded Spill
	scratch_store_dwordx2 off, v[4:5], off offset:1528 ; 8-byte Folded Spill
	s_nop 0
	v_mov_b32_e32 v3, v8
	scratch_store_dwordx4 off, v[0:3], off offset:1456 ; 16-byte Folded Spill
	scratch_load_dwordx4 v[2:5], off, off offset:624
	s_nop 0
	scratch_load_dwordx4 v[6:9], off, off offset:608
	s_waitcnt vmcnt(6)
	v_mov_b32_e32 v0, v10
	s_waitcnt vmcnt(1)
	v_mov_b32_e32 v1, v2
	scratch_store_dwordx2 off, v[0:1], off offset:1536 ; 8-byte Folded Spill
	v_mov_b32_e32 v0, v13
	v_mov_b32_e32 v1, v5
	v_mov_b32_e32 v2, v11
	scratch_store_dwordx2 off, v[0:1], off offset:1576 ; 8-byte Folded Spill
	v_mov_b64_e32 v[0:1], v[2:3]
	v_mov_b32_e32 v13, v4
	s_waitcnt vmcnt(2)
	scratch_store_dwordx4 off, v[6:9], off offset:1560 ; 16-byte Folded Spill
	scratch_store_dwordx4 off, v[0:3], off offset:1544 ; 16-byte Folded Spill
	scratch_store_dwordx4 off, v[10:13], off offset:1512 ; 16-byte Folded Spill
	scratch_load_dwordx4 v[0:3], off, off offset:640
	s_nop 0
	;; [unrolled: 39-line block ×3, first 2 shown]
	scratch_load_dwordx4 v[4:7], off, off offset:752
	s_waitcnt vmcnt(0)
	scratch_store_dwordx4 off, v[4:7], off offset:1728 ; 16-byte Folded Spill
	scratch_load_dwordx4 v[6:9], off, off offset:768
	s_nop 0
	scratch_load_dwordx4 v[10:13], off, off offset:784
	v_mov_b32_e32 v4, v0
	s_waitcnt vmcnt(1)
	v_mov_b32_e32 v5, v6
	v_mov_b32_e32 v6, v1
	v_mov_b64_e32 v[0:1], v[6:7]
	scratch_store_dwordx2 off, v[4:5], off offset:1744 ; 8-byte Folded Spill
	v_mov_b32_e32 v4, v3
	v_mov_b32_e32 v5, v9
	scratch_store_dwordx4 off, v[0:3], off offset:1752 ; 16-byte Folded Spill
	scratch_store_dwordx2 off, v[4:5], off offset:1784 ; 8-byte Folded Spill
	s_nop 0
	v_mov_b32_e32 v3, v8
	scratch_store_dwordx4 off, v[0:3], off offset:1712 ; 16-byte Folded Spill
	scratch_load_dwordx4 v[2:5], off, off offset:816
	s_nop 0
	scratch_load_dwordx4 v[6:9], off, off offset:800
	s_waitcnt vmcnt(6)
	v_mov_b32_e32 v0, v10
	s_waitcnt vmcnt(1)
	v_mov_b32_e32 v1, v2
	scratch_store_dwordx2 off, v[0:1], off offset:1792 ; 8-byte Folded Spill
	v_mov_b32_e32 v0, v13
	v_mov_b32_e32 v1, v5
	v_mov_b32_e32 v2, v11
	scratch_store_dwordx2 off, v[0:1], off offset:1832 ; 8-byte Folded Spill
	v_mov_b64_e32 v[0:1], v[2:3]
	v_mov_b32_e32 v13, v4
	s_waitcnt vmcnt(2)
	scratch_store_dwordx4 off, v[6:9], off offset:1816 ; 16-byte Folded Spill
	scratch_store_dwordx4 off, v[0:3], off offset:1800 ; 16-byte Folded Spill
	;; [unrolled: 1-line block ×3, first 2 shown]
	scratch_load_dwordx4 v[0:3], off, off
	s_nop 0
	scratch_load_dwordx4 v[100:103], off, off offset:16
	scratch_load_dwordx4 v[14:17], off, off offset:32
	scratch_load_dwordx4 v[6:9], off, off offset:48
	scratch_load_dwordx4 v[92:95], off, off offset:1136 ; 16-byte Folded Reload
	scratch_load_dwordx4 v[96:99], off, off offset:1168 ; 16-byte Folded Reload
	;; [unrolled: 1-line block ×4, first 2 shown]
.LBB4_27:                               ; =>This Loop Header: Depth=1
                                        ;     Child Loop BB4_28 Depth 2
	s_lshl_b64 s[0:1], s[26:27], 4
	s_add_u32 s0, s18, s0
	s_addc_u32 s1, s19, s1
	global_load_dwordx4 v[110:113], v47, s[0:1]
	scratch_load_dwordx4 v[48:51], off, off offset:1088 ; 16-byte Folded Reload
	scratch_load_dwordx2 v[4:5], off, off offset:1312 ; 8-byte Folded Reload
	scratch_load_dwordx2 v[10:11], off, off offset:1320 ; 8-byte Folded Reload
	s_mov_b32 s40, s29
	s_mov_b64 s[30:31], s[24:25]
	scratch_load_dwordx4 v[88:91], off, off offset:1104 ; 16-byte Folded Reload
	s_waitcnt vmcnt(4)
	v_ashrrev_i32_e32 v29, 31, v113
	s_waitcnt vmcnt(3)
	v_fma_f32 v68, v110, v48, v51
	s_waitcnt vmcnt(1)
	v_pk_fma_f32 v[4:5], v[110:111], v[10:11], v[4:5] op_sel_hi:[0,1,1]
	scratch_load_dwordx4 v[10:13], off, off offset:1072 ; 16-byte Folded Reload
	v_fmac_f32_e32 v68, v111, v49
	v_fmac_f32_e32 v68, v112, v50
	v_mov_b32_e32 v28, v113
	v_fma_f32 v71, v110, v92, v95
	v_fma_f32 v73, v110, v96, v99
	;; [unrolled: 1-line block ×4, first 2 shown]
	v_lshlrev_b64 v[28:29], 4, v[28:29]
	v_fmac_f32_e32 v71, v111, v93
	v_fmac_f32_e32 v73, v111, v97
	;; [unrolled: 1-line block ×4, first 2 shown]
	v_lshl_add_u64 v[28:29], s[22:23], 0, v[28:29]
	v_fmac_f32_e32 v71, v112, v94
	v_fmac_f32_e32 v73, v112, v98
	;; [unrolled: 1-line block ×4, first 2 shown]
	s_waitcnt vmcnt(1)
	v_fma_f32 v69, v110, v88, v91
	v_fmac_f32_e32 v69, v111, v89
	v_fmac_f32_e32 v69, v112, v90
	s_waitcnt vmcnt(0)
	v_pk_fma_f32 v[4:5], v[110:111], v[10:11], v[4:5] op_sel:[1,0,0]
	scratch_load_dwordx2 v[10:11], off, off offset:1296 ; 8-byte Folded Reload
	scratch_load_dwordx2 v[12:13], off, off offset:1304 ; 8-byte Folded Reload
	scratch_load_dwordx4 v[24:27], off, off offset:1040 ; 16-byte Folded Reload
	scratch_load_dwordx4 v[116:119], off, off offset:1120 ; 16-byte Folded Reload
	s_waitcnt vmcnt(2)
	v_pk_fma_f32 v[10:11], v[110:111], v[12:13], v[10:11] op_sel_hi:[0,1,1]
	scratch_load_dwordx2 v[12:13], off, off offset:1280 ; 8-byte Folded Reload
	scratch_load_dwordx2 v[18:19], off, off offset:1288 ; 8-byte Folded Reload
	s_waitcnt vmcnt(3)
	v_pk_fma_f32 v[10:11], v[110:111], v[24:25], v[10:11] op_sel:[1,0,0]
	scratch_load_dwordx4 v[24:27], off, off offset:1008 ; 16-byte Folded Reload
	s_waitcnt vmcnt(3)
	v_fma_f32 v70, v110, v116, v119
	v_fmac_f32_e32 v70, v111, v117
	v_fmac_f32_e32 v70, v112, v118
	s_waitcnt vmcnt(1)
	v_pk_fma_f32 v[12:13], v[110:111], v[18:19], v[12:13] op_sel_hi:[0,1,1]
	s_waitcnt vmcnt(0)
	v_pk_fma_f32 v[12:13], v[110:111], v[24:25], v[12:13] op_sel:[1,0,0]
	scratch_load_dwordx2 v[18:19], off, off offset:1264 ; 8-byte Folded Reload
	scratch_load_dwordx2 v[24:25], off, off offset:1272 ; 8-byte Folded Reload
	scratch_load_dwordx4 v[30:33], off, off offset:1152 ; 16-byte Folded Reload
	s_waitcnt vmcnt(1)
	v_pk_fma_f32 v[18:19], v[110:111], v[24:25], v[18:19] op_sel_hi:[0,1,1]
	scratch_load_dwordx4 v[24:27], off, off offset:976 ; 16-byte Folded Reload
	s_waitcnt vmcnt(1)
	v_fma_f32 v72, v110, v30, v33
	v_fmac_f32_e32 v72, v111, v31
	v_fmac_f32_e32 v72, v112, v32
	s_waitcnt vmcnt(0)
	v_pk_fma_f32 v[24:25], v[110:111], v[24:25], v[18:19] op_sel:[1,0,0]
	scratch_load_dwordx2 v[18:19], off, off offset:1248 ; 8-byte Folded Reload
	scratch_load_dwordx2 v[26:27], off, off offset:1256 ; 8-byte Folded Reload
	scratch_load_dwordx4 v[38:41], off, off offset:944 ; 16-byte Folded Reload
	s_waitcnt vmcnt(1)
	v_pk_fma_f32 v[18:19], v[110:111], v[26:27], v[18:19] op_sel_hi:[0,1,1]
	s_waitcnt vmcnt(0)
	v_pk_fma_f32 v[26:27], v[110:111], v[38:39], v[18:19] op_sel:[1,0,0]
	scratch_load_dwordx2 v[18:19], off, off offset:1232 ; 8-byte Folded Reload
	scratch_load_dwordx2 v[30:31], off, off offset:1240 ; 8-byte Folded Reload
	scratch_load_dwordx4 v[38:41], off, off offset:912 ; 16-byte Folded Reload
	scratch_load_dwordx4 v[104:107], off, off offset:1184 ; 16-byte Folded Reload
	s_waitcnt vmcnt(2)
	v_pk_fma_f32 v[18:19], v[110:111], v[30:31], v[18:19] op_sel_hi:[0,1,1]
	s_waitcnt vmcnt(1)
	v_pk_fma_f32 v[38:39], v[110:111], v[38:39], v[18:19] op_sel:[1,0,0]
	scratch_load_dwordx2 v[18:19], off, off offset:1216 ; 8-byte Folded Reload
	scratch_load_dwordx2 v[30:31], off, off offset:1224 ; 8-byte Folded Reload
	scratch_load_dwordx4 v[40:43], off, off offset:880 ; 16-byte Folded Reload
	scratch_load_dwordx4 v[20:23], off, off offset:1344 ; 16-byte Folded Reload
	;; [unrolled: 1-line block ×4, first 2 shown]
	s_waitcnt vmcnt(6)
	v_fma_f32 v74, v110, v104, v107
	v_fmac_f32_e32 v74, v111, v105
	v_fmac_f32_e32 v74, v112, v106
	s_waitcnt vmcnt(4)
	v_pk_fma_f32 v[18:19], v[110:111], v[30:31], v[18:19] op_sel_hi:[0,1,1]
	s_waitcnt vmcnt(3)
	v_pk_fma_f32 v[40:41], v[110:111], v[40:41], v[18:19] op_sel:[1,0,0]
	v_pk_fma_f32 v[18:19], v[110:111], v[124:125], v[108:109] op_sel_hi:[0,1,1]
	s_waitcnt vmcnt(2)
	v_fma_f32 v76, v110, v20, v23
	s_waitcnt vmcnt(0)
	v_pk_fma_f32 v[42:43], v[110:111], v[42:43], v[18:19] op_sel:[1,0,0]
	v_fmac_f32_e32 v76, v111, v21
	scratch_load_dwordx2 v[18:19], off, off offset:1360 ; 8-byte Folded Reload
	scratch_load_dwordx2 v[20:21], off, off offset:1400 ; 8-byte Folded Reload
	scratch_load_dwordx4 v[64:67], off, off offset:1368 ; 16-byte Folded Reload
	v_fmac_f32_e32 v76, v112, v22
	v_fma_f32 v75, v110, v120, v123
	v_fmac_f32_e32 v75, v111, v121
	v_fmac_f32_e32 v75, v112, v122
	s_waitcnt vmcnt(1)
	v_pk_fma_f32 v[18:19], v[110:111], v[18:19], v[20:21] op_sel_hi:[0,1,1]
	s_waitcnt vmcnt(0)
	v_pk_fma_f32 v[48:49], v[110:111], v[64:65], v[18:19] op_sel:[1,0,0]
	scratch_load_dwordx4 v[18:21], off, off offset:1432 ; 16-byte Folded Reload
	s_waitcnt vmcnt(0)
	v_fma_f32 v77, v110, v18, v21
	v_fmac_f32_e32 v77, v111, v19
	scratch_load_dwordx2 v[18:19], off, off offset:1408 ; 8-byte Folded Reload
	scratch_load_dwordx2 v[30:31], off, off offset:1448 ; 8-byte Folded Reload
	scratch_load_dwordx4 v[64:67], off, off offset:1416 ; 16-byte Folded Reload
	v_fmac_f32_e32 v77, v112, v20
	s_waitcnt vmcnt(1)
	v_pk_fma_f32 v[18:19], v[110:111], v[18:19], v[30:31] op_sel_hi:[0,1,1]
	s_waitcnt vmcnt(0)
	v_pk_fma_f32 v[64:65], v[110:111], v[64:65], v[18:19] op_sel:[1,0,0]
	scratch_load_dwordx2 v[18:19], off, off offset:1488 ; 8-byte Folded Reload
	scratch_load_dwordx2 v[30:31], off, off offset:1528 ; 8-byte Folded Reload
	scratch_load_dwordx4 v[80:83], off, off offset:1496 ; 16-byte Folded Reload
	s_waitcnt vmcnt(1)
	v_pk_fma_f32 v[18:19], v[110:111], v[18:19], v[30:31] op_sel_hi:[0,1,1]
	s_waitcnt vmcnt(0)
	v_pk_fma_f32 v[66:67], v[110:111], v[80:81], v[18:19] op_sel:[1,0,0]
	scratch_load_dwordx2 v[18:19], off, off offset:1536 ; 8-byte Folded Reload
	scratch_load_dwordx2 v[30:31], off, off offset:1576 ; 8-byte Folded Reload
	scratch_load_dwordx4 v[80:83], off, off offset:1544 ; 16-byte Folded Reload
	scratch_load_dwordx4 v[56:59], off, off offset:1600 ; 16-byte Folded Reload
	s_waitcnt vmcnt(2)
	v_pk_fma_f32 v[18:19], v[110:111], v[18:19], v[30:31] op_sel_hi:[0,1,1]
	s_waitcnt vmcnt(1)
	v_pk_fma_f32 v[82:83], v[110:111], v[80:81], v[18:19] op_sel:[1,0,0]
	scratch_load_dwordx2 v[18:19], off, off offset:1616 ; 8-byte Folded Reload
	scratch_load_dwordx2 v[30:31], off, off offset:1656 ; 8-byte Folded Reload
	scratch_load_dwordx4 v[86:89], off, off offset:1056 ; 16-byte Folded Reload
	s_waitcnt vmcnt(3)
	v_fma_f32 v80, v110, v56, v59
	v_fmac_f32_e32 v80, v111, v57
	scratch_load_dwordx4 v[54:57], off, off offset:1624 ; 16-byte Folded Reload
	v_fmac_f32_e32 v80, v112, v58
	scratch_load_dwordx4 v[20:23], off, off offset:1384 ; 16-byte Folded Reload
	s_waitcnt vmcnt(3)
	v_pk_fma_f32 v[18:19], v[110:111], v[18:19], v[30:31] op_sel_hi:[0,1,1]
	s_waitcnt vmcnt(2)
	v_pk_fma_f32 v[44:45], v[112:113], v[88:89], v[4:5] op_sel_hi:[0,1,1]
	scratch_load_dwordx4 v[86:89], off, off offset:1024 ; 16-byte Folded Reload
	s_waitcnt vmcnt(0)
	v_pk_fma_f32 v[50:51], v[112:113], v[88:89], v[10:11] op_sel_hi:[0,1,1]
	scratch_load_dwordx4 v[86:89], off, off offset:992 ; 16-byte Folded Reload
	v_pk_fma_f32 v[84:85], v[110:111], v[54:55], v[18:19] op_sel:[1,0,0]
	scratch_load_dwordx4 v[54:57], off, off offset:1688 ; 16-byte Folded Reload
	s_waitcnt vmcnt(1)
	v_pk_fma_f32 v[18:19], v[112:113], v[88:89], v[12:13] op_sel_hi:[0,1,1]
	scratch_load_dwordx4 v[10:13], off, off offset:960 ; 16-byte Folded Reload
	s_waitcnt vmcnt(0)
	v_pk_fma_f32 v[4:5], v[112:113], v[12:13], v[24:25] op_sel_hi:[0,1,1]
	scratch_load_dwordx4 v[10:13], off, off offset:928 ; 16-byte Folded Reload
	s_waitcnt vmcnt(0)
	v_pk_fma_f32 v[26:27], v[112:113], v[12:13], v[26:27] op_sel_hi:[0,1,1]
	scratch_load_dwordx4 v[10:13], off, off offset:896 ; 16-byte Folded Reload
	s_waitcnt vmcnt(0)
	v_pk_fma_f32 v[126:127], v[112:113], v[12:13], v[38:39] op_sel_hi:[0,1,1]
	scratch_load_dwordx4 v[10:13], off, off offset:864 ; 16-byte Folded Reload
	v_fma_f32 v81, v110, v54, v57
	v_fmac_f32_e32 v81, v111, v55
	v_fmac_f32_e32 v81, v112, v56
	s_waitcnt vmcnt(0)
	v_pk_fma_f32 v[38:39], v[112:113], v[12:13], v[40:41] op_sel_hi:[0,1,1]
	scratch_load_dwordx4 v[10:13], off, off offset:832 ; 16-byte Folded Reload
	s_waitcnt vmcnt(0)
	v_pk_fma_f32 v[54:55], v[112:113], v[12:13], v[42:43] op_sel_hi:[0,1,1]
	scratch_load_dwordx4 v[10:13], off, off offset:1328 ; 16-byte Folded Reload
	s_waitcnt vmcnt(0)
	v_pk_fma_f32 v[10:11], v[112:113], v[12:13], v[48:49] op_sel_hi:[0,1,1]
	v_pk_fma_f32 v[12:13], v[112:113], v[22:23], v[64:65] op_sel_hi:[0,1,1]
	scratch_load_dwordx4 v[20:23], off, off offset:1456 ; 16-byte Folded Reload
	s_waitcnt vmcnt(0)
	v_pk_fma_f32 v[24:25], v[112:113], v[22:23], v[66:67] op_sel_hi:[0,1,1]
	scratch_load_dwordx4 v[20:23], off, off offset:1512 ; 16-byte Folded Reload
	s_waitcnt vmcnt(0)
	;; [unrolled: 3-line block ×3, first 2 shown]
	v_pk_fma_f32 v[48:49], v[112:113], v[22:23], v[84:85] op_sel_hi:[0,1,1]
	scratch_load_dwordx2 v[20:21], off, off offset:1664 ; 8-byte Folded Reload
	scratch_load_dwordx2 v[22:23], off, off offset:1704 ; 8-byte Folded Reload
	s_waitcnt vmcnt(0)
	v_pk_fma_f32 v[42:43], v[110:111], v[20:21], v[22:23] op_sel_hi:[0,1,1]
	scratch_load_dwordx4 v[20:23], off, off offset:1672 ; 16-byte Folded Reload
	s_waitcnt vmcnt(0)
	v_pk_fma_f32 v[42:43], v[110:111], v[20:21], v[42:43] op_sel:[1,0,0]
	scratch_load_dwordx4 v[20:23], off, off offset:1640 ; 16-byte Folded Reload
	s_waitcnt vmcnt(0)
	v_pk_fma_f32 v[42:43], v[112:113], v[22:23], v[42:43] op_sel_hi:[0,1,1]
	scratch_load_dwordx4 v[20:23], off, off offset:1728 ; 16-byte Folded Reload
	s_waitcnt vmcnt(0)
	v_fma_f32 v82, v110, v20, v23
	v_fmac_f32_e32 v82, v111, v21
	v_fmac_f32_e32 v82, v112, v22
	scratch_load_dwordx2 v[20:21], off, off offset:1744 ; 8-byte Folded Reload
	scratch_load_dwordx2 v[22:23], off, off offset:1784 ; 8-byte Folded Reload
	s_waitcnt vmcnt(0)
	v_pk_fma_f32 v[64:65], v[110:111], v[20:21], v[22:23] op_sel_hi:[0,1,1]
	scratch_load_dwordx4 v[20:23], off, off offset:1752 ; 16-byte Folded Reload
	s_waitcnt vmcnt(0)
	v_pk_fma_f32 v[64:65], v[110:111], v[20:21], v[64:65] op_sel:[1,0,0]
	scratch_load_dwordx4 v[20:23], off, off offset:1712 ; 16-byte Folded Reload
	s_waitcnt vmcnt(0)
	v_pk_fma_f32 v[104:105], v[112:113], v[22:23], v[64:65] op_sel_hi:[0,1,1]
	scratch_load_dwordx4 v[20:23], off, off offset:1816 ; 16-byte Folded Reload
	s_waitcnt vmcnt(0)
	v_fma_f32 v83, v110, v20, v23
	v_fmac_f32_e32 v83, v111, v21
	v_fmac_f32_e32 v83, v112, v22
	scratch_load_dwordx2 v[20:21], off, off offset:1792 ; 8-byte Folded Reload
	scratch_load_dwordx2 v[22:23], off, off offset:1832 ; 8-byte Folded Reload
	s_waitcnt vmcnt(0)
	v_pk_fma_f32 v[64:65], v[110:111], v[20:21], v[22:23] op_sel_hi:[0,1,1]
	scratch_load_dwordx4 v[20:23], off, off offset:1800 ; 16-byte Folded Reload
	s_waitcnt vmcnt(0)
	v_pk_fma_f32 v[64:65], v[110:111], v[20:21], v[64:65] op_sel:[1,0,0]
	scratch_load_dwordx4 v[20:23], off, off offset:1768 ; 16-byte Folded Reload
	s_waitcnt vmcnt(0)
	v_pk_fma_f32 v[116:117], v[112:113], v[22:23], v[64:65] op_sel_hi:[0,1,1]
	global_load_dwordx4 v[110:113], v[28:29], off
	v_mov_b32_e32 v28, 0x40b00000
	s_waitcnt vmcnt(0)
	v_cmp_gt_f32_e64 s[8:9], 0, v112
	s_nop 1
	v_cndmask_b32_e64 v84, 1.0, v28, s[8:9]
	v_mov_b32_e32 v28, 0xff7fffff
	v_cmp_lt_f32_e64 s[2:3], 0, v112
	v_cmp_eq_u32_e64 s[4:5], s37, v110
	v_cmp_eq_u32_e64 s[6:7], s38, v110
	v_cndmask_b32_e64 v85, v28, 1.0, s[8:9]
.LBB4_28:                               ;   Parent Loop BB4_27 Depth=1
                                        ; =>  This Inner Loop Header: Depth=2
	global_load_dwordx4 v[118:121], v47, s[30:31] offset:-8
	s_waitcnt vmcnt(0)
	v_ashrrev_i32_e32 v29, 31, v121
	v_mov_b32_e32 v28, v121
	v_lshlrev_b64 v[28:29], 4, v[28:29]
	v_lshl_add_u64 v[28:29], s[22:23], 0, v[28:29]
	global_load_dwordx4 v[88:91], v[28:29], off
	s_waitcnt vmcnt(0)
	v_add_f32_e32 v64, v111, v89
	v_div_scale_f32 v28, s[0:1], v64, v64, 1.0
	v_rcp_f32_e32 v29, v28
	v_cmp_lt_f32_e64 s[0:1], 0, v90
	s_and_b64 s[0:1], s[0:1], s[8:9]
	v_cmp_neq_f32_e64 s[10:11], 0, v90
	v_fma_f32 v46, -v28, v29, 1.0
	v_fmac_f32_e32 v29, v46, v29
	v_div_scale_f32 v46, vcc, 1.0, v64, 1.0
	v_mul_f32_e32 v52, v46, v29
	v_fma_f32 v65, -v28, v52, v46
	v_fmac_f32_e32 v52, v65, v29
	v_fma_f32 v28, -v28, v52, v46
	v_div_fmas_f32 v28, v28, v29, v52
	v_cmp_eq_u32_e32 vcc, s37, v88
	s_and_b64 vcc, vcc, s[4:5]
	v_mov_b32_e32 v46, 0x3e800000
	v_cndmask_b32_e64 v29, 2.0, 4.0, vcc
	v_cndmask_b32_e32 v114, 0.5, v46, vcc
	v_cmp_eq_u32_e32 vcc, s38, v88
	s_or_b64 s[34:35], vcc, s[6:7]
	v_cmp_gt_f32_e32 vcc, 0, v90
	v_cndmask_b32_e64 v66, v112, -v112, s[0:1]
	s_and_b64 s[14:15], vcc, s[2:3]
	v_cndmask_b32_e32 v86, v85, v84, vcc
	v_div_scale_f32 v46, s[0:1], v86, v86, 1.0
	v_rcp_f32_e32 v52, v46
	v_cndmask_b32_e64 v65, v90, -v90, s[14:15]
	v_add_f32_e32 v110, v65, v66
	v_mov_b32_e32 v66, v118
	v_fma_f32 v67, -v46, v52, 1.0
	v_fmac_f32_e32 v52, v67, v52
	v_div_scale_f32 v67, vcc, 1.0, v86, 1.0
	v_mul_f32_e32 v87, v67, v52
	v_fma_f32 v88, -v46, v87, v67
	v_fmac_f32_e32 v87, v88, v52
	v_fma_f32 v46, -v46, v87, v67
	v_mov_b32_e32 v67, v120
	v_pk_add_f32 v[88:89], v[44:45], v[66:67] neg_lo:[0,1] neg_hi:[0,1]
	v_sub_f32_e32 v65, v68, v119
	v_pk_mul_f32 v[88:89], v[88:89], v[88:89]
	v_div_fmas_f32 v46, v46, v52, v87
	v_fma_f32 v65, v65, v65, v88
	v_add_f32_e32 v65, v65, v89
	v_cmp_gt_f32_e32 vcc, s39, v65
	v_mul_f32_e32 v87, 0x4f800000, v65
	v_mul_f32_e32 v52, v113, v91
	v_cndmask_b32_e32 v65, v65, v87, vcc
	v_sqrt_f32_e32 v87, v65
	v_pk_add_f32 v[90:91], v[50:51], v[66:67] neg_lo:[0,1] neg_hi:[0,1]
	v_div_fixup_f32 v28, v28, v64, 1.0
	v_pk_mul_f32 v[90:91], v[90:91], v[90:91]
	v_add_u32_e32 v88, -1, v87
	v_fma_f32 v89, -v88, v87, v65
	v_cmp_ge_f32_e64 s[0:1], 0, v89
	v_add_u32_e32 v89, 1, v87
	v_div_fixup_f32 v46, v46, v86, 1.0
	v_cndmask_b32_e64 v88, v87, v88, s[0:1]
	v_fma_f32 v87, -v89, v87, v65
	v_cmp_lt_f32_e64 s[0:1], 0, v87
	s_nop 1
	v_cndmask_b32_e64 v87, v88, v89, s[0:1]
	v_mul_f32_e32 v88, 0x37800000, v87
	v_cndmask_b32_e32 v87, v87, v88, vcc
	v_cmp_class_f32_e32 vcc, v65, v53
	s_nop 1
	v_cndmask_b32_e32 v88, v87, v65, vcc
	v_sub_f32_e32 v65, v69, v119
	v_fma_f32 v65, v65, v65, v90
	v_add_f32_e32 v65, v65, v91
	v_cmp_gt_f32_e32 vcc, s39, v65
	v_mul_f32_e32 v87, 0x4f800000, v65
	s_nop 0
	v_cndmask_b32_e32 v65, v65, v87, vcc
	v_sqrt_f32_e32 v87, v65
	s_nop 0
	v_add_u32_e32 v89, -1, v87
	v_fma_f32 v90, -v89, v87, v65
	v_cmp_ge_f32_e64 s[0:1], 0, v90
	v_add_u32_e32 v90, 1, v87
	s_nop 0
	v_cndmask_b32_e64 v89, v87, v89, s[0:1]
	v_fma_f32 v87, -v90, v87, v65
	v_cmp_lt_f32_e64 s[0:1], 0, v87
	s_nop 1
	v_cndmask_b32_e64 v87, v89, v90, s[0:1]
	v_mul_f32_e32 v89, 0x37800000, v87
	v_cndmask_b32_e32 v87, v87, v89, vcc
	v_cmp_class_f32_e32 vcc, v65, v53
	s_nop 1
	v_cndmask_b32_e32 v89, v87, v65, vcc
	v_pk_add_f32 v[90:91], v[88:89], v[64:65] op_sel_hi:[1,0] neg_lo:[0,1] neg_hi:[0,1]
	v_pk_fma_f32 v[88:89], v[28:29], v[88:89], 1.0 op_sel_hi:[0,1,0] neg_lo:[1,0,0] neg_hi:[1,0,0]
	v_cmp_gt_f32_e32 vcc, 0, v90
	v_cmp_gt_f32_e64 s[0:1], 0, v91
	v_cmp_lt_f32_e64 s[14:15], v90, v29
	v_cndmask_b32_e32 v120, 0, v115, vcc
	v_cndmask_b32_e64 v121, 0, v115, s[0:1]
	v_pk_fma_f32 v[0:1], v[88:89], v[120:121], v[0:1]
	v_pk_fma_f32 v[88:89], v[114:115], v[90:91], 1.0 op_sel_hi:[0,1,0] neg_lo:[1,0,0] neg_hi:[1,0,0]
	v_cmp_lt_f32_e64 s[16:17], v91, v29
	v_cndmask_b32_e64 v89, v89, 1.0, s[0:1]
	v_cndmask_b32_e64 v88, v88, 1.0, vcc
	v_cndmask_b32_e64 v121, 0, 1.0, s[16:17]
	v_cndmask_b32_e64 v120, 0, 1.0, s[14:15]
	v_pk_mul_f32 v[88:89], v[120:121], v[88:89]
	v_cmp_lt_f32_e64 s[14:15], v91, v86
	v_pk_mul_f32 v[88:89], v[52:53], v[88:89] op_sel_hi:[0,1]
	v_cmp_lt_f32_e64 s[16:17], v90, v86
	v_cndmask_b32_e64 v89, v89, -|v89|, s[34:35]
	v_cndmask_b32_e64 v88, v88, -|v88|, s[34:35]
	s_and_b64 s[16:17], s[10:11], s[16:17]
	s_and_b64 s[14:15], s[10:11], s[14:15]
	v_pk_fma_f32 v[0:1], v[88:89], s[28:29], v[0:1] op_sel_hi:[1,0,1]
	v_pk_fma_f32 v[88:89], v[46:47], v[90:91], 1.0 op_sel_hi:[0,1,0] neg_lo:[1,0,0] neg_hi:[1,0,0]
	v_cndmask_b32_e64 v91, 0, 1.0, s[14:15]
	v_cndmask_b32_e64 v90, 0, 1.0, s[16:17]
	v_pk_mul_f32 v[90:91], v[110:111], v[90:91] op_sel_hi:[0,1]
	v_cndmask_b32_e64 v89, v89, 1.0, s[0:1]
	v_cndmask_b32_e64 v88, v88, 1.0, vcc
	v_pk_fma_f32 v[0:1], v[88:89], v[90:91], v[0:1]
	v_pk_add_f32 v[88:89], v[18:19], v[66:67] neg_lo:[0,1] neg_hi:[0,1]
	v_sub_f32_e32 v65, v70, v119
	v_pk_mul_f32 v[88:89], v[88:89], v[88:89]
	v_pk_add_f32 v[90:91], v[4:5], v[66:67] neg_lo:[0,1] neg_hi:[0,1]
	v_fma_f32 v65, v65, v65, v88
	v_add_f32_e32 v65, v65, v89
	v_cmp_gt_f32_e32 vcc, s39, v65
	v_mul_f32_e32 v87, 0x4f800000, v65
	v_pk_mul_f32 v[90:91], v[90:91], v[90:91]
	v_cndmask_b32_e32 v65, v65, v87, vcc
	v_sqrt_f32_e32 v87, v65
	s_nop 0
	v_add_u32_e32 v88, -1, v87
	v_fma_f32 v89, -v88, v87, v65
	v_cmp_ge_f32_e64 s[0:1], 0, v89
	v_add_u32_e32 v89, 1, v87
	s_nop 0
	v_cndmask_b32_e64 v88, v87, v88, s[0:1]
	v_fma_f32 v87, -v89, v87, v65
	v_cmp_lt_f32_e64 s[0:1], 0, v87
	s_nop 1
	v_cndmask_b32_e64 v87, v88, v89, s[0:1]
	v_mul_f32_e32 v88, 0x37800000, v87
	v_cndmask_b32_e32 v87, v87, v88, vcc
	v_cmp_class_f32_e32 vcc, v65, v53
	s_nop 1
	v_cndmask_b32_e32 v88, v87, v65, vcc
	v_sub_f32_e32 v65, v71, v119
	v_fma_f32 v65, v65, v65, v90
	v_add_f32_e32 v65, v65, v91
	v_cmp_gt_f32_e32 vcc, s39, v65
	v_mul_f32_e32 v87, 0x4f800000, v65
	s_nop 0
	v_cndmask_b32_e32 v65, v65, v87, vcc
	v_sqrt_f32_e32 v87, v65
	s_nop 0
	v_add_u32_e32 v89, -1, v87
	v_fma_f32 v90, -v89, v87, v65
	v_cmp_ge_f32_e64 s[0:1], 0, v90
	v_add_u32_e32 v90, 1, v87
	s_nop 0
	v_cndmask_b32_e64 v89, v87, v89, s[0:1]
	v_fma_f32 v87, -v90, v87, v65
	v_cmp_lt_f32_e64 s[0:1], 0, v87
	s_nop 1
	v_cndmask_b32_e64 v87, v89, v90, s[0:1]
	v_mul_f32_e32 v89, 0x37800000, v87
	v_cndmask_b32_e32 v87, v87, v89, vcc
	v_cmp_class_f32_e32 vcc, v65, v53
	s_nop 1
	v_cndmask_b32_e32 v89, v87, v65, vcc
	v_pk_add_f32 v[90:91], v[88:89], v[64:65] op_sel_hi:[1,0] neg_lo:[0,1] neg_hi:[0,1]
	v_pk_fma_f32 v[88:89], v[28:29], v[88:89], 1.0 op_sel_hi:[0,1,0] neg_lo:[1,0,0] neg_hi:[1,0,0]
	v_cmp_gt_f32_e32 vcc, 0, v90
	v_cmp_gt_f32_e64 s[0:1], 0, v91
	v_cmp_lt_f32_e64 s[14:15], v90, v29
	v_cndmask_b32_e32 v120, 0, v115, vcc
	v_cndmask_b32_e64 v121, 0, v115, s[0:1]
	v_pk_fma_f32 v[2:3], v[88:89], v[120:121], v[2:3]
	v_pk_fma_f32 v[88:89], v[114:115], v[90:91], 1.0 op_sel_hi:[0,1,0] neg_lo:[1,0,0] neg_hi:[1,0,0]
	v_cmp_lt_f32_e64 s[16:17], v91, v29
	v_cndmask_b32_e64 v89, v89, 1.0, s[0:1]
	v_cndmask_b32_e64 v88, v88, 1.0, vcc
	v_cndmask_b32_e64 v121, 0, 1.0, s[16:17]
	v_cndmask_b32_e64 v120, 0, 1.0, s[14:15]
	v_pk_mul_f32 v[88:89], v[120:121], v[88:89]
	v_cmp_lt_f32_e64 s[14:15], v91, v86
	v_pk_mul_f32 v[88:89], v[52:53], v[88:89] op_sel_hi:[0,1]
	v_cmp_lt_f32_e64 s[16:17], v90, v86
	v_cndmask_b32_e64 v89, v89, -|v89|, s[34:35]
	v_cndmask_b32_e64 v88, v88, -|v88|, s[34:35]
	s_and_b64 s[16:17], s[10:11], s[16:17]
	s_and_b64 s[14:15], s[10:11], s[14:15]
	v_pk_fma_f32 v[2:3], v[88:89], s[28:29], v[2:3] op_sel_hi:[1,0,1]
	v_pk_fma_f32 v[88:89], v[46:47], v[90:91], 1.0 op_sel_hi:[0,1,0] neg_lo:[1,0,0] neg_hi:[1,0,0]
	v_cndmask_b32_e64 v91, 0, 1.0, s[14:15]
	v_cndmask_b32_e64 v90, 0, 1.0, s[16:17]
	v_pk_mul_f32 v[90:91], v[110:111], v[90:91] op_sel_hi:[0,1]
	v_cndmask_b32_e64 v89, v89, 1.0, s[0:1]
	v_cndmask_b32_e64 v88, v88, 1.0, vcc
	v_pk_fma_f32 v[2:3], v[88:89], v[90:91], v[2:3]
	v_pk_add_f32 v[88:89], v[26:27], v[66:67] neg_lo:[0,1] neg_hi:[0,1]
	v_sub_f32_e32 v65, v72, v119
	v_pk_mul_f32 v[88:89], v[88:89], v[88:89]
	v_pk_add_f32 v[90:91], v[126:127], v[66:67] neg_lo:[0,1] neg_hi:[0,1]
	v_fma_f32 v65, v65, v65, v88
	v_add_f32_e32 v65, v65, v89
	v_cmp_gt_f32_e32 vcc, s39, v65
	v_mul_f32_e32 v87, 0x4f800000, v65
	v_pk_mul_f32 v[90:91], v[90:91], v[90:91]
	v_cndmask_b32_e32 v65, v65, v87, vcc
	v_sqrt_f32_e32 v87, v65
	s_nop 0
	v_add_u32_e32 v88, -1, v87
	v_fma_f32 v89, -v88, v87, v65
	v_cmp_ge_f32_e64 s[0:1], 0, v89
	v_add_u32_e32 v89, 1, v87
	s_nop 0
	v_cndmask_b32_e64 v88, v87, v88, s[0:1]
	v_fma_f32 v87, -v89, v87, v65
	v_cmp_lt_f32_e64 s[0:1], 0, v87
	s_nop 1
	v_cndmask_b32_e64 v87, v88, v89, s[0:1]
	v_mul_f32_e32 v88, 0x37800000, v87
	v_cndmask_b32_e32 v87, v87, v88, vcc
	v_cmp_class_f32_e32 vcc, v65, v53
	s_nop 1
	v_cndmask_b32_e32 v88, v87, v65, vcc
	v_sub_f32_e32 v65, v73, v119
	v_fma_f32 v65, v65, v65, v90
	v_add_f32_e32 v65, v65, v91
	v_cmp_gt_f32_e32 vcc, s39, v65
	v_mul_f32_e32 v87, 0x4f800000, v65
	s_nop 0
	v_cndmask_b32_e32 v65, v65, v87, vcc
	v_sqrt_f32_e32 v87, v65
	s_nop 0
	v_add_u32_e32 v89, -1, v87
	v_fma_f32 v90, -v89, v87, v65
	v_cmp_ge_f32_e64 s[0:1], 0, v90
	v_add_u32_e32 v90, 1, v87
	s_nop 0
	v_cndmask_b32_e64 v89, v87, v89, s[0:1]
	v_fma_f32 v87, -v90, v87, v65
	v_cmp_lt_f32_e64 s[0:1], 0, v87
	s_nop 1
	v_cndmask_b32_e64 v87, v89, v90, s[0:1]
	v_mul_f32_e32 v89, 0x37800000, v87
	v_cndmask_b32_e32 v87, v87, v89, vcc
	v_cmp_class_f32_e32 vcc, v65, v53
	s_nop 1
	v_cndmask_b32_e32 v89, v87, v65, vcc
	v_pk_add_f32 v[90:91], v[88:89], v[64:65] op_sel_hi:[1,0] neg_lo:[0,1] neg_hi:[0,1]
	v_pk_fma_f32 v[88:89], v[28:29], v[88:89], 1.0 op_sel_hi:[0,1,0] neg_lo:[1,0,0] neg_hi:[1,0,0]
	v_cmp_gt_f32_e32 vcc, 0, v90
	v_cmp_gt_f32_e64 s[0:1], 0, v91
	v_cmp_lt_f32_e64 s[14:15], v90, v29
	v_cndmask_b32_e32 v120, 0, v115, vcc
	v_cndmask_b32_e64 v121, 0, v115, s[0:1]
	v_pk_fma_f32 v[88:89], v[88:89], v[120:121], v[100:101]
	v_pk_fma_f32 v[100:101], v[114:115], v[90:91], 1.0 op_sel_hi:[0,1,0] neg_lo:[1,0,0] neg_hi:[1,0,0]
	v_cmp_lt_f32_e64 s[16:17], v91, v29
	v_cndmask_b32_e64 v101, v101, 1.0, s[0:1]
	v_cndmask_b32_e64 v100, v100, 1.0, vcc
	v_cndmask_b32_e64 v121, 0, 1.0, s[16:17]
	v_cndmask_b32_e64 v120, 0, 1.0, s[14:15]
	v_pk_mul_f32 v[100:101], v[120:121], v[100:101]
	v_cmp_lt_f32_e64 s[14:15], v91, v86
	v_pk_mul_f32 v[100:101], v[52:53], v[100:101] op_sel_hi:[0,1]
	v_cmp_lt_f32_e64 s[16:17], v90, v86
	v_cndmask_b32_e64 v101, v101, -|v101|, s[34:35]
	v_cndmask_b32_e64 v100, v100, -|v100|, s[34:35]
	s_and_b64 s[16:17], s[10:11], s[16:17]
	s_and_b64 s[14:15], s[10:11], s[14:15]
	v_pk_fma_f32 v[88:89], v[100:101], s[28:29], v[88:89] op_sel_hi:[1,0,1]
	v_pk_fma_f32 v[100:101], v[46:47], v[90:91], 1.0 op_sel_hi:[0,1,0] neg_lo:[1,0,0] neg_hi:[1,0,0]
	v_cndmask_b32_e64 v91, 0, 1.0, s[14:15]
	v_cndmask_b32_e64 v90, 0, 1.0, s[16:17]
	v_pk_mul_f32 v[90:91], v[110:111], v[90:91] op_sel_hi:[0,1]
	v_cndmask_b32_e64 v101, v101, 1.0, s[0:1]
	v_cndmask_b32_e64 v100, v100, 1.0, vcc
	v_pk_fma_f32 v[100:101], v[100:101], v[90:91], v[88:89]
	v_pk_add_f32 v[88:89], v[38:39], v[66:67] neg_lo:[0,1] neg_hi:[0,1]
	v_sub_f32_e32 v65, v74, v119
	v_pk_mul_f32 v[88:89], v[88:89], v[88:89]
	v_pk_add_f32 v[90:91], v[54:55], v[66:67] neg_lo:[0,1] neg_hi:[0,1]
	v_fma_f32 v65, v65, v65, v88
	v_add_f32_e32 v65, v65, v89
	v_cmp_gt_f32_e32 vcc, s39, v65
	v_mul_f32_e32 v87, 0x4f800000, v65
	v_pk_mul_f32 v[90:91], v[90:91], v[90:91]
	v_cndmask_b32_e32 v65, v65, v87, vcc
	v_sqrt_f32_e32 v87, v65
	s_nop 0
	v_add_u32_e32 v88, -1, v87
	v_fma_f32 v89, -v88, v87, v65
	v_cmp_ge_f32_e64 s[0:1], 0, v89
	v_add_u32_e32 v89, 1, v87
	s_nop 0
	v_cndmask_b32_e64 v88, v87, v88, s[0:1]
	v_fma_f32 v87, -v89, v87, v65
	v_cmp_lt_f32_e64 s[0:1], 0, v87
	s_nop 1
	v_cndmask_b32_e64 v87, v88, v89, s[0:1]
	v_mul_f32_e32 v88, 0x37800000, v87
	v_cndmask_b32_e32 v87, v87, v88, vcc
	v_cmp_class_f32_e32 vcc, v65, v53
	s_nop 1
	v_cndmask_b32_e32 v88, v87, v65, vcc
	v_sub_f32_e32 v65, v75, v119
	v_fma_f32 v65, v65, v65, v90
	v_add_f32_e32 v65, v65, v91
	v_cmp_gt_f32_e32 vcc, s39, v65
	v_mul_f32_e32 v87, 0x4f800000, v65
	s_nop 0
	v_cndmask_b32_e32 v65, v65, v87, vcc
	v_sqrt_f32_e32 v87, v65
	s_nop 0
	v_add_u32_e32 v89, -1, v87
	v_fma_f32 v90, -v89, v87, v65
	v_cmp_ge_f32_e64 s[0:1], 0, v90
	v_add_u32_e32 v90, 1, v87
	s_nop 0
	v_cndmask_b32_e64 v89, v87, v89, s[0:1]
	v_fma_f32 v87, -v90, v87, v65
	v_cmp_lt_f32_e64 s[0:1], 0, v87
	s_nop 1
	v_cndmask_b32_e64 v87, v89, v90, s[0:1]
	v_mul_f32_e32 v89, 0x37800000, v87
	v_cndmask_b32_e32 v87, v87, v89, vcc
	v_cmp_class_f32_e32 vcc, v65, v53
	s_nop 1
	v_cndmask_b32_e32 v89, v87, v65, vcc
	v_pk_add_f32 v[90:91], v[88:89], v[64:65] op_sel_hi:[1,0] neg_lo:[0,1] neg_hi:[0,1]
	v_pk_fma_f32 v[88:89], v[28:29], v[88:89], 1.0 op_sel_hi:[0,1,0] neg_lo:[1,0,0] neg_hi:[1,0,0]
	v_cmp_gt_f32_e32 vcc, 0, v90
	v_cmp_gt_f32_e64 s[0:1], 0, v91
	v_cmp_lt_f32_e64 s[14:15], v90, v29
	v_cndmask_b32_e32 v120, 0, v115, vcc
	v_cndmask_b32_e64 v121, 0, v115, s[0:1]
	v_pk_fma_f32 v[88:89], v[88:89], v[120:121], v[102:103]
	v_pk_fma_f32 v[102:103], v[114:115], v[90:91], 1.0 op_sel_hi:[0,1,0] neg_lo:[1,0,0] neg_hi:[1,0,0]
	v_cmp_lt_f32_e64 s[16:17], v91, v29
	v_cndmask_b32_e64 v103, v103, 1.0, s[0:1]
	v_cndmask_b32_e64 v102, v102, 1.0, vcc
	v_cndmask_b32_e64 v121, 0, 1.0, s[16:17]
	v_cndmask_b32_e64 v120, 0, 1.0, s[14:15]
	v_pk_mul_f32 v[102:103], v[120:121], v[102:103]
	v_cmp_lt_f32_e64 s[14:15], v91, v86
	v_pk_mul_f32 v[102:103], v[52:53], v[102:103] op_sel_hi:[0,1]
	v_cmp_lt_f32_e64 s[16:17], v90, v86
	v_cndmask_b32_e64 v103, v103, -|v103|, s[34:35]
	v_cndmask_b32_e64 v102, v102, -|v102|, s[34:35]
	s_and_b64 s[16:17], s[10:11], s[16:17]
	s_and_b64 s[14:15], s[10:11], s[14:15]
	v_pk_fma_f32 v[88:89], v[102:103], s[28:29], v[88:89] op_sel_hi:[1,0,1]
	v_pk_fma_f32 v[102:103], v[46:47], v[90:91], 1.0 op_sel_hi:[0,1,0] neg_lo:[1,0,0] neg_hi:[1,0,0]
	v_cndmask_b32_e64 v91, 0, 1.0, s[14:15]
	v_cndmask_b32_e64 v90, 0, 1.0, s[16:17]
	v_pk_mul_f32 v[90:91], v[110:111], v[90:91] op_sel_hi:[0,1]
	v_cndmask_b32_e64 v103, v103, 1.0, s[0:1]
	v_cndmask_b32_e64 v102, v102, 1.0, vcc
	v_pk_fma_f32 v[102:103], v[102:103], v[90:91], v[88:89]
	v_pk_add_f32 v[88:89], v[10:11], v[66:67] neg_lo:[0,1] neg_hi:[0,1]
	v_sub_f32_e32 v65, v76, v119
	v_pk_mul_f32 v[88:89], v[88:89], v[88:89]
	v_pk_add_f32 v[90:91], v[12:13], v[66:67] neg_lo:[0,1] neg_hi:[0,1]
	v_fma_f32 v65, v65, v65, v88
	v_add_f32_e32 v65, v65, v89
	v_cmp_gt_f32_e32 vcc, s39, v65
	v_mul_f32_e32 v87, 0x4f800000, v65
	v_pk_mul_f32 v[90:91], v[90:91], v[90:91]
	v_cndmask_b32_e32 v65, v65, v87, vcc
	v_sqrt_f32_e32 v87, v65
	s_nop 0
	v_add_u32_e32 v88, -1, v87
	v_fma_f32 v89, -v88, v87, v65
	v_cmp_ge_f32_e64 s[0:1], 0, v89
	v_add_u32_e32 v89, 1, v87
	s_nop 0
	v_cndmask_b32_e64 v88, v87, v88, s[0:1]
	v_fma_f32 v87, -v89, v87, v65
	v_cmp_lt_f32_e64 s[0:1], 0, v87
	s_nop 1
	v_cndmask_b32_e64 v87, v88, v89, s[0:1]
	v_mul_f32_e32 v88, 0x37800000, v87
	v_cndmask_b32_e32 v87, v87, v88, vcc
	v_cmp_class_f32_e32 vcc, v65, v53
	s_nop 1
	v_cndmask_b32_e32 v88, v87, v65, vcc
	v_sub_f32_e32 v65, v77, v119
	v_fma_f32 v65, v65, v65, v90
	v_add_f32_e32 v65, v65, v91
	v_cmp_gt_f32_e32 vcc, s39, v65
	v_mul_f32_e32 v87, 0x4f800000, v65
	s_nop 0
	v_cndmask_b32_e32 v65, v65, v87, vcc
	v_sqrt_f32_e32 v87, v65
	s_nop 0
	v_add_u32_e32 v89, -1, v87
	v_fma_f32 v90, -v89, v87, v65
	v_cmp_ge_f32_e64 s[0:1], 0, v90
	v_add_u32_e32 v90, 1, v87
	s_nop 0
	v_cndmask_b32_e64 v89, v87, v89, s[0:1]
	v_fma_f32 v87, -v90, v87, v65
	v_cmp_lt_f32_e64 s[0:1], 0, v87
	s_nop 1
	v_cndmask_b32_e64 v87, v89, v90, s[0:1]
	v_mul_f32_e32 v89, 0x37800000, v87
	v_cndmask_b32_e32 v87, v87, v89, vcc
	v_cmp_class_f32_e32 vcc, v65, v53
	s_nop 1
	v_cndmask_b32_e32 v89, v87, v65, vcc
	v_pk_add_f32 v[90:91], v[88:89], v[64:65] op_sel_hi:[1,0] neg_lo:[0,1] neg_hi:[0,1]
	v_pk_fma_f32 v[88:89], v[28:29], v[88:89], 1.0 op_sel_hi:[0,1,0] neg_lo:[1,0,0] neg_hi:[1,0,0]
	v_cmp_gt_f32_e32 vcc, 0, v90
	v_cmp_gt_f32_e64 s[0:1], 0, v91
	v_cmp_lt_f32_e64 s[14:15], v90, v29
	v_cndmask_b32_e32 v120, 0, v115, vcc
	v_cndmask_b32_e64 v121, 0, v115, s[0:1]
	v_pk_fma_f32 v[14:15], v[88:89], v[120:121], v[14:15]
	v_pk_fma_f32 v[88:89], v[114:115], v[90:91], 1.0 op_sel_hi:[0,1,0] neg_lo:[1,0,0] neg_hi:[1,0,0]
	v_cmp_lt_f32_e64 s[16:17], v91, v29
	v_cndmask_b32_e64 v89, v89, 1.0, s[0:1]
	v_cndmask_b32_e64 v88, v88, 1.0, vcc
	v_cndmask_b32_e64 v121, 0, 1.0, s[16:17]
	v_cndmask_b32_e64 v120, 0, 1.0, s[14:15]
	v_pk_mul_f32 v[88:89], v[120:121], v[88:89]
	v_cmp_lt_f32_e64 s[14:15], v91, v86
	v_pk_mul_f32 v[88:89], v[52:53], v[88:89] op_sel_hi:[0,1]
	v_cmp_lt_f32_e64 s[16:17], v90, v86
	v_cndmask_b32_e64 v89, v89, -|v89|, s[34:35]
	v_cndmask_b32_e64 v88, v88, -|v88|, s[34:35]
	s_and_b64 s[16:17], s[10:11], s[16:17]
	s_and_b64 s[14:15], s[10:11], s[14:15]
	v_pk_fma_f32 v[14:15], v[88:89], s[28:29], v[14:15] op_sel_hi:[1,0,1]
	v_pk_fma_f32 v[88:89], v[46:47], v[90:91], 1.0 op_sel_hi:[0,1,0] neg_lo:[1,0,0] neg_hi:[1,0,0]
	v_cndmask_b32_e64 v91, 0, 1.0, s[14:15]
	v_cndmask_b32_e64 v90, 0, 1.0, s[16:17]
	v_pk_mul_f32 v[90:91], v[110:111], v[90:91] op_sel_hi:[0,1]
	v_cndmask_b32_e64 v89, v89, 1.0, s[0:1]
	v_cndmask_b32_e64 v88, v88, 1.0, vcc
	v_pk_fma_f32 v[14:15], v[88:89], v[90:91], v[14:15]
	v_pk_add_f32 v[88:89], v[24:25], v[66:67] neg_lo:[0,1] neg_hi:[0,1]
	v_sub_f32_e32 v65, v78, v119
	v_pk_mul_f32 v[88:89], v[88:89], v[88:89]
	v_pk_add_f32 v[90:91], v[40:41], v[66:67] neg_lo:[0,1] neg_hi:[0,1]
	v_fma_f32 v65, v65, v65, v88
	v_add_f32_e32 v65, v65, v89
	v_cmp_gt_f32_e32 vcc, s39, v65
	v_mul_f32_e32 v87, 0x4f800000, v65
	v_pk_mul_f32 v[90:91], v[90:91], v[90:91]
	v_cndmask_b32_e32 v65, v65, v87, vcc
	v_sqrt_f32_e32 v87, v65
	s_nop 0
	v_add_u32_e32 v88, -1, v87
	v_fma_f32 v89, -v88, v87, v65
	v_cmp_ge_f32_e64 s[0:1], 0, v89
	v_add_u32_e32 v89, 1, v87
	s_nop 0
	v_cndmask_b32_e64 v88, v87, v88, s[0:1]
	v_fma_f32 v87, -v89, v87, v65
	v_cmp_lt_f32_e64 s[0:1], 0, v87
	s_nop 1
	v_cndmask_b32_e64 v87, v88, v89, s[0:1]
	v_mul_f32_e32 v88, 0x37800000, v87
	v_cndmask_b32_e32 v87, v87, v88, vcc
	v_cmp_class_f32_e32 vcc, v65, v53
	s_nop 1
	v_cndmask_b32_e32 v88, v87, v65, vcc
	v_sub_f32_e32 v65, v79, v119
	v_fma_f32 v65, v65, v65, v90
	v_add_f32_e32 v65, v65, v91
	v_cmp_gt_f32_e32 vcc, s39, v65
	v_mul_f32_e32 v87, 0x4f800000, v65
	s_nop 0
	v_cndmask_b32_e32 v65, v65, v87, vcc
	v_sqrt_f32_e32 v87, v65
	s_nop 0
	v_add_u32_e32 v89, -1, v87
	v_fma_f32 v90, -v89, v87, v65
	v_cmp_ge_f32_e64 s[0:1], 0, v90
	v_add_u32_e32 v90, 1, v87
	s_nop 0
	v_cndmask_b32_e64 v89, v87, v89, s[0:1]
	v_fma_f32 v87, -v90, v87, v65
	v_cmp_lt_f32_e64 s[0:1], 0, v87
	s_nop 1
	v_cndmask_b32_e64 v87, v89, v90, s[0:1]
	v_mul_f32_e32 v89, 0x37800000, v87
	v_cndmask_b32_e32 v87, v87, v89, vcc
	v_cmp_class_f32_e32 vcc, v65, v53
	s_nop 1
	v_cndmask_b32_e32 v89, v87, v65, vcc
	v_pk_add_f32 v[90:91], v[88:89], v[64:65] op_sel_hi:[1,0] neg_lo:[0,1] neg_hi:[0,1]
	v_pk_fma_f32 v[88:89], v[28:29], v[88:89], 1.0 op_sel_hi:[0,1,0] neg_lo:[1,0,0] neg_hi:[1,0,0]
	v_cmp_gt_f32_e32 vcc, 0, v90
	v_cmp_gt_f32_e64 s[0:1], 0, v91
	v_cmp_lt_f32_e64 s[14:15], v90, v29
	v_cndmask_b32_e32 v120, 0, v115, vcc
	v_cndmask_b32_e64 v121, 0, v115, s[0:1]
	v_pk_fma_f32 v[16:17], v[88:89], v[120:121], v[16:17]
	v_pk_fma_f32 v[88:89], v[114:115], v[90:91], 1.0 op_sel_hi:[0,1,0] neg_lo:[1,0,0] neg_hi:[1,0,0]
	v_cmp_lt_f32_e64 s[16:17], v91, v29
	v_cndmask_b32_e64 v89, v89, 1.0, s[0:1]
	v_cndmask_b32_e64 v88, v88, 1.0, vcc
	v_cndmask_b32_e64 v121, 0, 1.0, s[16:17]
	v_cndmask_b32_e64 v120, 0, 1.0, s[14:15]
	v_pk_mul_f32 v[88:89], v[120:121], v[88:89]
	v_cmp_lt_f32_e64 s[14:15], v91, v86
	v_pk_mul_f32 v[88:89], v[52:53], v[88:89] op_sel_hi:[0,1]
	v_cmp_lt_f32_e64 s[16:17], v90, v86
	v_cndmask_b32_e64 v89, v89, -|v89|, s[34:35]
	v_cndmask_b32_e64 v88, v88, -|v88|, s[34:35]
	s_and_b64 s[16:17], s[10:11], s[16:17]
	s_and_b64 s[14:15], s[10:11], s[14:15]
	v_pk_fma_f32 v[16:17], v[88:89], s[28:29], v[16:17] op_sel_hi:[1,0,1]
	v_pk_fma_f32 v[88:89], v[46:47], v[90:91], 1.0 op_sel_hi:[0,1,0] neg_lo:[1,0,0] neg_hi:[1,0,0]
	v_cndmask_b32_e64 v91, 0, 1.0, s[14:15]
	v_cndmask_b32_e64 v90, 0, 1.0, s[16:17]
	v_pk_mul_f32 v[90:91], v[110:111], v[90:91] op_sel_hi:[0,1]
	v_cndmask_b32_e64 v89, v89, 1.0, s[0:1]
	v_cndmask_b32_e64 v88, v88, 1.0, vcc
	v_pk_fma_f32 v[16:17], v[88:89], v[90:91], v[16:17]
	v_pk_add_f32 v[88:89], v[48:49], v[66:67] neg_lo:[0,1] neg_hi:[0,1]
	v_sub_f32_e32 v65, v80, v119
	v_pk_mul_f32 v[88:89], v[88:89], v[88:89]
	v_pk_add_f32 v[90:91], v[42:43], v[66:67] neg_lo:[0,1] neg_hi:[0,1]
	v_fma_f32 v65, v65, v65, v88
	v_add_f32_e32 v65, v65, v89
	v_cmp_gt_f32_e32 vcc, s39, v65
	v_mul_f32_e32 v87, 0x4f800000, v65
	v_pk_mul_f32 v[90:91], v[90:91], v[90:91]
	v_cndmask_b32_e32 v65, v65, v87, vcc
	v_sqrt_f32_e32 v87, v65
	s_nop 0
	v_add_u32_e32 v88, -1, v87
	v_fma_f32 v89, -v88, v87, v65
	v_cmp_ge_f32_e64 s[0:1], 0, v89
	v_add_u32_e32 v89, 1, v87
	s_nop 0
	v_cndmask_b32_e64 v88, v87, v88, s[0:1]
	v_fma_f32 v87, -v89, v87, v65
	v_cmp_lt_f32_e64 s[0:1], 0, v87
	s_nop 1
	v_cndmask_b32_e64 v87, v88, v89, s[0:1]
	v_mul_f32_e32 v88, 0x37800000, v87
	v_cndmask_b32_e32 v87, v87, v88, vcc
	v_cmp_class_f32_e32 vcc, v65, v53
	s_nop 1
	v_cndmask_b32_e32 v88, v87, v65, vcc
	v_sub_f32_e32 v65, v81, v119
	v_fma_f32 v65, v65, v65, v90
	v_add_f32_e32 v65, v65, v91
	v_cmp_gt_f32_e32 vcc, s39, v65
	v_mul_f32_e32 v87, 0x4f800000, v65
	s_nop 0
	v_cndmask_b32_e32 v65, v65, v87, vcc
	v_sqrt_f32_e32 v87, v65
	s_nop 0
	v_add_u32_e32 v89, -1, v87
	v_fma_f32 v90, -v89, v87, v65
	v_cmp_ge_f32_e64 s[0:1], 0, v90
	v_add_u32_e32 v90, 1, v87
	s_nop 0
	v_cndmask_b32_e64 v89, v87, v89, s[0:1]
	v_fma_f32 v87, -v90, v87, v65
	v_cmp_lt_f32_e64 s[0:1], 0, v87
	s_nop 1
	v_cndmask_b32_e64 v87, v89, v90, s[0:1]
	v_mul_f32_e32 v89, 0x37800000, v87
	v_cndmask_b32_e32 v87, v87, v89, vcc
	v_cmp_class_f32_e32 vcc, v65, v53
	s_nop 1
	v_cndmask_b32_e32 v89, v87, v65, vcc
	v_pk_add_f32 v[90:91], v[88:89], v[64:65] op_sel_hi:[1,0] neg_lo:[0,1] neg_hi:[0,1]
	v_pk_fma_f32 v[88:89], v[28:29], v[88:89], 1.0 op_sel_hi:[0,1,0] neg_lo:[1,0,0] neg_hi:[1,0,0]
	v_cmp_gt_f32_e32 vcc, 0, v90
	v_cmp_gt_f32_e64 s[0:1], 0, v91
	v_cmp_lt_f32_e64 s[14:15], v90, v29
	v_cndmask_b32_e32 v120, 0, v115, vcc
	v_cndmask_b32_e64 v121, 0, v115, s[0:1]
	v_pk_fma_f32 v[6:7], v[88:89], v[120:121], v[6:7]
	v_pk_fma_f32 v[88:89], v[114:115], v[90:91], 1.0 op_sel_hi:[0,1,0] neg_lo:[1,0,0] neg_hi:[1,0,0]
	v_cmp_lt_f32_e64 s[16:17], v91, v29
	v_cndmask_b32_e64 v89, v89, 1.0, s[0:1]
	v_cndmask_b32_e64 v88, v88, 1.0, vcc
	v_cndmask_b32_e64 v121, 0, 1.0, s[16:17]
	v_cndmask_b32_e64 v120, 0, 1.0, s[14:15]
	v_pk_mul_f32 v[88:89], v[120:121], v[88:89]
	v_cmp_lt_f32_e64 s[14:15], v91, v86
	v_pk_mul_f32 v[88:89], v[52:53], v[88:89] op_sel_hi:[0,1]
	v_cmp_lt_f32_e64 s[16:17], v90, v86
	v_cndmask_b32_e64 v89, v89, -|v89|, s[34:35]
	v_cndmask_b32_e64 v88, v88, -|v88|, s[34:35]
	s_and_b64 s[16:17], s[10:11], s[16:17]
	s_and_b64 s[14:15], s[10:11], s[14:15]
	v_pk_fma_f32 v[6:7], v[88:89], s[28:29], v[6:7] op_sel_hi:[1,0,1]
	v_pk_fma_f32 v[88:89], v[46:47], v[90:91], 1.0 op_sel_hi:[0,1,0] neg_lo:[1,0,0] neg_hi:[1,0,0]
	v_cndmask_b32_e64 v91, 0, 1.0, s[14:15]
	v_cndmask_b32_e64 v90, 0, 1.0, s[16:17]
	v_pk_mul_f32 v[90:91], v[110:111], v[90:91] op_sel_hi:[0,1]
	v_cndmask_b32_e64 v89, v89, 1.0, s[0:1]
	v_cndmask_b32_e64 v88, v88, 1.0, vcc
	v_pk_fma_f32 v[6:7], v[88:89], v[90:91], v[6:7]
	v_pk_add_f32 v[88:89], v[104:105], v[66:67] neg_lo:[0,1] neg_hi:[0,1]
	v_sub_f32_e32 v65, v82, v119
	v_pk_mul_f32 v[88:89], v[88:89], v[88:89]
	v_pk_add_f32 v[66:67], v[116:117], v[66:67] neg_lo:[0,1] neg_hi:[0,1]
	v_fma_f32 v65, v65, v65, v88
	v_add_f32_e32 v65, v65, v89
	v_cmp_gt_f32_e32 vcc, s39, v65
	v_mul_f32_e32 v87, 0x4f800000, v65
	v_pk_mul_f32 v[66:67], v[66:67], v[66:67]
	v_cndmask_b32_e32 v65, v65, v87, vcc
	v_sqrt_f32_e32 v87, v65
	s_nop 0
	v_add_u32_e32 v88, -1, v87
	v_fma_f32 v89, -v88, v87, v65
	v_cmp_ge_f32_e64 s[0:1], 0, v89
	v_add_u32_e32 v89, 1, v87
	s_nop 0
	v_cndmask_b32_e64 v88, v87, v88, s[0:1]
	v_fma_f32 v87, -v89, v87, v65
	v_cmp_lt_f32_e64 s[0:1], 0, v87
	s_nop 1
	v_cndmask_b32_e64 v87, v88, v89, s[0:1]
	v_mul_f32_e32 v88, 0x37800000, v87
	v_cndmask_b32_e32 v87, v87, v88, vcc
	v_cmp_class_f32_e32 vcc, v65, v53
	s_nop 1
	v_cndmask_b32_e32 v118, v87, v65, vcc
	v_sub_f32_e32 v65, v83, v119
	v_fma_f32 v65, v65, v65, v66
	v_add_f32_e32 v65, v65, v67
	v_cmp_gt_f32_e32 vcc, s39, v65
	v_mul_f32_e32 v66, 0x4f800000, v65
	s_nop 0
	v_cndmask_b32_e32 v65, v65, v66, vcc
	v_sqrt_f32_e32 v66, v65
	s_nop 0
	v_add_u32_e32 v67, -1, v66
	v_fma_f32 v87, -v67, v66, v65
	v_cmp_ge_f32_e64 s[0:1], 0, v87
	v_add_u32_e32 v87, 1, v66
	s_nop 0
	v_cndmask_b32_e64 v67, v66, v67, s[0:1]
	v_fma_f32 v66, -v87, v66, v65
	v_cmp_lt_f32_e64 s[0:1], 0, v66
	s_nop 1
	v_cndmask_b32_e64 v66, v67, v87, s[0:1]
	v_mul_f32_e32 v67, 0x37800000, v66
	v_cndmask_b32_e32 v66, v66, v67, vcc
	v_cmp_class_f32_e32 vcc, v65, v53
	s_nop 1
	v_cndmask_b32_e32 v119, v66, v65, vcc
	v_pk_add_f32 v[64:65], v[118:119], v[64:65] op_sel_hi:[1,0] neg_lo:[0,1] neg_hi:[0,1]
	v_pk_fma_f32 v[66:67], v[28:29], v[118:119], 1.0 op_sel_hi:[0,1,0] neg_lo:[1,0,0] neg_hi:[1,0,0]
	v_cmp_gt_f32_e32 vcc, 0, v64
	v_cmp_gt_f32_e64 s[0:1], 0, v65
	v_cmp_lt_f32_e64 s[14:15], v64, v29
	v_cndmask_b32_e32 v88, 0, v115, vcc
	v_cndmask_b32_e64 v89, 0, v115, s[0:1]
	v_pk_fma_f32 v[8:9], v[66:67], v[88:89], v[8:9]
	v_pk_fma_f32 v[66:67], v[114:115], v[64:65], 1.0 op_sel_hi:[0,1,0] neg_lo:[1,0,0] neg_hi:[1,0,0]
	v_cmp_lt_f32_e64 s[16:17], v65, v29
	v_cndmask_b32_e64 v67, v67, 1.0, s[0:1]
	v_cndmask_b32_e64 v66, v66, 1.0, vcc
	v_cndmask_b32_e64 v29, 0, 1.0, s[16:17]
	v_cndmask_b32_e64 v28, 0, 1.0, s[14:15]
	v_pk_mul_f32 v[28:29], v[28:29], v[66:67]
	v_cmp_lt_f32_e64 s[14:15], v65, v86
	v_pk_mul_f32 v[28:29], v[52:53], v[28:29] op_sel_hi:[0,1]
	v_cmp_lt_f32_e64 s[16:17], v64, v86
	v_cndmask_b32_e64 v29, v29, -|v29|, s[34:35]
	v_cndmask_b32_e64 v28, v28, -|v28|, s[34:35]
	s_and_b64 s[16:17], s[10:11], s[16:17]
	s_and_b64 s[10:11], s[10:11], s[14:15]
	v_pk_fma_f32 v[8:9], v[28:29], s[28:29], v[8:9] op_sel_hi:[1,0,1]
	v_pk_fma_f32 v[28:29], v[46:47], v[64:65], 1.0 op_sel_hi:[0,1,0] neg_lo:[1,0,0] neg_hi:[1,0,0]
	v_cndmask_b32_e64 v65, 0, 1.0, s[10:11]
	v_cndmask_b32_e64 v64, 0, 1.0, s[16:17]
	s_add_u32 s30, s30, 16
	v_pk_mul_f32 v[64:65], v[110:111], v[64:65] op_sel_hi:[0,1]
	v_cndmask_b32_e64 v29, v29, 1.0, s[0:1]
	v_cndmask_b32_e64 v28, v28, 1.0, vcc
	s_addc_u32 s31, s31, 0
	s_add_i32 s40, s40, -1
	v_pk_fma_f32 v[8:9], v[28:29], v[64:65], v[8:9]
	s_cmp_lg_u32 s40, 0
	s_cbranch_scc1 .LBB4_28
; %bb.29:                               ;   in Loop: Header=BB4_27 Depth=1
	s_add_i32 s26, s26, 1
	s_cmp_lg_u32 s26, s36
	s_cbranch_scc1 .LBB4_27
; %bb.30:
	scratch_store_dwordx4 off, v[0:3], off
	scratch_store_dwordx4 off, v[100:103], off offset:16
	scratch_store_dwordx4 off, v[14:17], off offset:32
	;; [unrolled: 1-line block ×3, first 2 shown]
	s_and_saveexec_b64 s[0:1], s[12:13]
	s_cbranch_execz .LBB4_32
; %bb.31:
	scratch_load_dwordx2 v[4:5], off, off offset:1840 ; 8-byte Folded Reload
	v_mov_b32_e32 v11, 0
	v_mul_f32_e32 v0, 0.5, v0
	v_mul_f32_e32 v2, 0.5, v2
	s_waitcnt vmcnt(0)
	v_mov_b32_e32 v10, v4
	v_lshl_add_u64 v[4:5], v[10:11], 2, s[20:21]
	v_add_u32_e32 v10, s33, v10
	global_store_dword v[4:5], v0, off
	v_mul_f32_e32 v4, 0.5, v1
	v_lshl_add_u64 v[0:1], v[10:11], 2, s[20:21]
	v_add_u32_e32 v10, s33, v10
	global_store_dword v[0:1], v4, off
	v_lshl_add_u64 v[0:1], v[10:11], 2, s[20:21]
	v_add_u32_e32 v10, s33, v10
	global_store_dword v[0:1], v2, off
	v_mul_f32_e32 v2, 0.5, v3
	v_lshl_add_u64 v[0:1], v[10:11], 2, s[20:21]
	v_add_u32_e32 v10, s33, v10
	global_store_dword v[0:1], v2, off
	v_mul_f32_e32 v2, 0.5, v100
	;; [unrolled: 4-line block ×13, first 2 shown]
	v_lshl_add_u64 v[0:1], v[10:11], 2, s[20:21]
	global_store_dword v[0:1], v2, off
.LBB4_32:
	s_endpgm
	.section	.rodata,"a",@progbits
	.p2align	6, 0x0
	.amdhsa_kernel _ZL11fasten_mainILm16EEviiPK4AtomS2_PKfS4_S4_S4_S4_S4_PfPK8FFParamsi
		.amdhsa_group_segment_fixed_size 0
		.amdhsa_private_segment_fixed_size 1856
		.amdhsa_kernarg_size 352
		.amdhsa_user_sgpr_count 2
		.amdhsa_user_sgpr_dispatch_ptr 0
		.amdhsa_user_sgpr_queue_ptr 0
		.amdhsa_user_sgpr_kernarg_segment_ptr 1
		.amdhsa_user_sgpr_dispatch_id 0
		.amdhsa_user_sgpr_kernarg_preload_length 0
		.amdhsa_user_sgpr_kernarg_preload_offset 0
		.amdhsa_user_sgpr_private_segment_size 0
		.amdhsa_uses_dynamic_stack 0
		.amdhsa_enable_private_segment 1
		.amdhsa_system_sgpr_workgroup_id_x 1
		.amdhsa_system_sgpr_workgroup_id_y 0
		.amdhsa_system_sgpr_workgroup_id_z 0
		.amdhsa_system_sgpr_workgroup_info 0
		.amdhsa_system_vgpr_workitem_id 0
		.amdhsa_next_free_vgpr 128
		.amdhsa_next_free_sgpr 49
		.amdhsa_accum_offset 128
		.amdhsa_reserve_vcc 1
		.amdhsa_float_round_mode_32 0
		.amdhsa_float_round_mode_16_64 0
		.amdhsa_float_denorm_mode_32 3
		.amdhsa_float_denorm_mode_16_64 3
		.amdhsa_dx10_clamp 1
		.amdhsa_ieee_mode 1
		.amdhsa_fp16_overflow 0
		.amdhsa_tg_split 0
		.amdhsa_exception_fp_ieee_invalid_op 0
		.amdhsa_exception_fp_denorm_src 0
		.amdhsa_exception_fp_ieee_div_zero 0
		.amdhsa_exception_fp_ieee_overflow 0
		.amdhsa_exception_fp_ieee_underflow 0
		.amdhsa_exception_fp_ieee_inexact 0
		.amdhsa_exception_int_div_zero 0
	.end_amdhsa_kernel
	.section	.text._ZL11fasten_mainILm16EEviiPK4AtomS2_PKfS4_S4_S4_S4_S4_PfPK8FFParamsi,"axG",@progbits,_ZL11fasten_mainILm16EEviiPK4AtomS2_PKfS4_S4_S4_S4_S4_PfPK8FFParamsi,comdat
.Lfunc_end4:
	.size	_ZL11fasten_mainILm16EEviiPK4AtomS2_PKfS4_S4_S4_S4_S4_PfPK8FFParamsi, .Lfunc_end4-_ZL11fasten_mainILm16EEviiPK4AtomS2_PKfS4_S4_S4_S4_S4_PfPK8FFParamsi
                                        ; -- End function
	.set _ZL11fasten_mainILm16EEviiPK4AtomS2_PKfS4_S4_S4_S4_S4_PfPK8FFParamsi.num_vgpr, 128
	.set _ZL11fasten_mainILm16EEviiPK4AtomS2_PKfS4_S4_S4_S4_S4_PfPK8FFParamsi.num_agpr, 0
	.set _ZL11fasten_mainILm16EEviiPK4AtomS2_PKfS4_S4_S4_S4_S4_PfPK8FFParamsi.numbered_sgpr, 49
	.set _ZL11fasten_mainILm16EEviiPK4AtomS2_PKfS4_S4_S4_S4_S4_PfPK8FFParamsi.num_named_barrier, 0
	.set _ZL11fasten_mainILm16EEviiPK4AtomS2_PKfS4_S4_S4_S4_S4_PfPK8FFParamsi.private_seg_size, 1856
	.set _ZL11fasten_mainILm16EEviiPK4AtomS2_PKfS4_S4_S4_S4_S4_PfPK8FFParamsi.uses_vcc, 1
	.set _ZL11fasten_mainILm16EEviiPK4AtomS2_PKfS4_S4_S4_S4_S4_PfPK8FFParamsi.uses_flat_scratch, 0
	.set _ZL11fasten_mainILm16EEviiPK4AtomS2_PKfS4_S4_S4_S4_S4_PfPK8FFParamsi.has_dyn_sized_stack, 0
	.set _ZL11fasten_mainILm16EEviiPK4AtomS2_PKfS4_S4_S4_S4_S4_PfPK8FFParamsi.has_recursion, 0
	.set _ZL11fasten_mainILm16EEviiPK4AtomS2_PKfS4_S4_S4_S4_S4_PfPK8FFParamsi.has_indirect_call, 0
	.section	.AMDGPU.csdata,"",@progbits
; Kernel info:
; codeLenInByte = 12980
; TotalNumSgprs: 55
; NumVgprs: 128
; NumAgprs: 0
; TotalNumVgprs: 128
; ScratchSize: 1856
; MemoryBound: 0
; FloatMode: 240
; IeeeMode: 1
; LDSByteSize: 0 bytes/workgroup (compile time only)
; SGPRBlocks: 6
; VGPRBlocks: 15
; NumSGPRsForWavesPerEU: 55
; NumVGPRsForWavesPerEU: 128
; AccumOffset: 128
; Occupancy: 4
; WaveLimiterHint : 1
; COMPUTE_PGM_RSRC2:SCRATCH_EN: 1
; COMPUTE_PGM_RSRC2:USER_SGPR: 2
; COMPUTE_PGM_RSRC2:TRAP_HANDLER: 0
; COMPUTE_PGM_RSRC2:TGID_X_EN: 1
; COMPUTE_PGM_RSRC2:TGID_Y_EN: 0
; COMPUTE_PGM_RSRC2:TGID_Z_EN: 0
; COMPUTE_PGM_RSRC2:TIDIG_COMP_CNT: 0
; COMPUTE_PGM_RSRC3_GFX90A:ACCUM_OFFSET: 31
; COMPUTE_PGM_RSRC3_GFX90A:TG_SPLIT: 0
	.section	.text._ZL11fasten_mainILm32EEviiPK4AtomS2_PKfS4_S4_S4_S4_S4_PfPK8FFParamsi,"axG",@progbits,_ZL11fasten_mainILm32EEviiPK4AtomS2_PKfS4_S4_S4_S4_S4_PfPK8FFParamsi,comdat
	.globl	_ZL11fasten_mainILm32EEviiPK4AtomS2_PKfS4_S4_S4_S4_S4_PfPK8FFParamsi ; -- Begin function _ZL11fasten_mainILm32EEviiPK4AtomS2_PKfS4_S4_S4_S4_S4_PfPK8FFParamsi
	.p2align	8
	.type	_ZL11fasten_mainILm32EEviiPK4AtomS2_PKfS4_S4_S4_S4_S4_PfPK8FFParamsi,@function
_ZL11fasten_mainILm32EEviiPK4AtomS2_PKfS4_S4_S4_S4_S4_PfPK8FFParamsi: ; @_ZL11fasten_mainILm32EEviiPK4AtomS2_PKfS4_S4_S4_S4_S4_PfPK8FFParamsi
; %bb.0:
	s_load_dword s3, s[0:1], 0x6c
	s_load_dword s4, s[0:1], 0x58
	s_load_dwordx16 s[16:31], s[0:1], 0x8
	s_mov_b32 s9, 0
	s_mov_b32 s34, 0
	s_waitcnt lgkmcnt(0)
	s_and_b32 s33, s3, 0xffff
	s_mul_i32 s2, s2, s33
	v_lshl_add_u32 v4, s2, 5, v0
	s_sub_i32 s2, s4, 32
	v_mov_b32_e32 v0, s2
	v_cmp_gt_i32_e64 s[14:15], s4, v4
	v_mov_b32_e32 v2, v4
	scratch_store_dwordx2 off, v[2:3], off offset:3840 ; 8-byte Folded Spill
	v_cndmask_b32_e64 v0, v0, v4, s[14:15]
	v_ashrrev_i32_e32 v1, 31, v0
	v_lshlrev_b64 v[0:1], 2, v[0:1]
	s_lshl_b32 s8, s33, 2
	s_brev_b32 s35, 18
	s_mov_b32 s36, 0xfe5163ab
	v_mov_b32_e32 v3, 0
	s_mov_b32 s37, 0x3c439041
	s_mov_b32 s38, 0xdb629599
	;; [unrolled: 1-line block ×9, first 2 shown]
	v_mov_b32_e32 v5, 0x3c0881c4
	v_mov_b32_e32 v6, 0xbab64f3b
	s_brev_b32 s46, 1
	s_movk_i32 s47, 0x1f8
	v_not_b32_e32 v7, 63
	v_not_b32_e32 v8, 31
	v_mov_b32_e32 v9, 0x7fc00000
	s_mov_b32 s48, s9
                                        ; implicit-def: $vgpr2
                                        ; implicit-def: $vgpr2
	;; [unrolled: 1-line block ×3, first 2 shown]
	s_branch .LBB5_2
.LBB5_1:                                ;   in Loop: Header=BB5_2 Depth=1
	s_or_b64 exec, exec, s[2:3]
	v_mul_f32_e32 v2, v26, v26
	v_fmamk_f32 v27, v2, 0xb94c1982, v5
	v_fmaak_f32 v27, v2, v27, 0xbe2aaa9d
	v_mul_f32_e32 v27, v2, v27
	v_fmac_f32_e32 v26, v26, v27
	v_fmamk_f32 v27, v2, 0x37d75334, v6
	v_fmaak_f32 v27, v2, v27, 0x3d2aabf7
	v_fmaak_f32 v27, v2, v27, 0xbf000004
	v_fma_f32 v2, v2, v27, 1.0
	v_and_b32_e32 v27, 1, v25
	v_lshlrev_b32_e32 v25, 30, v25
	v_cmp_eq_u32_e32 vcc, 0, v27
	v_and_b32_e32 v25, 0x80000000, v25
	v_xor_b32_e32 v22, v22, v21
	v_cndmask_b32_e32 v2, v2, v26, vcc
	v_xor_b32_e32 v22, v22, v25
	v_cmp_class_f32_e64 vcc, v21, s47
	v_mul_f32_e32 v21, v20, v20
	v_xor_b32_e32 v2, v22, v2
	v_fmamk_f32 v22, v21, 0xb94c1982, v5
	v_fmaak_f32 v22, v21, v22, 0xbe2aaa9d
	v_mul_f32_e32 v22, v21, v22
	v_fmac_f32_e32 v20, v20, v22
	v_fmamk_f32 v22, v21, 0x37d75334, v6
	v_fmaak_f32 v22, v21, v22, 0x3d2aabf7
	v_fmaak_f32 v22, v21, v22, 0xbf000004
	v_fma_f32 v21, v21, v22, 1.0
	v_and_b32_e32 v22, 1, v4
	v_cmp_eq_u32_e64 s[2:3], 0, v22
	v_lshlrev_b32_e32 v4, 30, v4
	v_lshl_add_u64 v[26:27], s[28:29], 0, v[0:1]
	v_cndmask_b32_e64 v20, -v20, v21, s[2:3]
	v_bitop3_b32 v4, v4, v20, s46 bitop3:0x6c
	v_lshl_add_u64 v[20:21], s[26:27], 0, v[0:1]
	global_load_dword v21, v[20:21], off
	v_mul_f32_e32 v20, v19, v19
	global_load_dword v25, v[26:27], off
	v_lshl_add_u64 v[26:27], s[30:31], 0, v[0:1]
	global_load_dword v27, v[26:27], off
	v_fmamk_f32 v22, v20, 0xb94c1982, v5
	v_fmaak_f32 v22, v20, v22, 0xbe2aaa9d
	v_mul_f32_e32 v22, v20, v22
	v_fmac_f32_e32 v19, v19, v22
	v_fmamk_f32 v22, v20, 0x37d75334, v6
	v_fmaak_f32 v22, v20, v22, 0x3d2aabf7
	v_fmaak_f32 v22, v20, v22, 0xbf000004
	v_fma_f32 v20, v20, v22, 1.0
	v_and_b32_e32 v22, 1, v18
	v_lshlrev_b32_e32 v18, 30, v18
	v_cmp_class_f32_e64 s[2:3], v16, s47
	v_and_b32_e32 v18, 0x80000000, v18
	v_xor_b32_e32 v16, v17, v16
	v_mul_f32_e32 v17, v15, v15
	v_xor_b32_e32 v16, v16, v18
	v_fmamk_f32 v18, v17, 0xb94c1982, v5
	v_fmaak_f32 v18, v17, v18, 0xbe2aaa9d
	v_mul_f32_e32 v18, v17, v18
	v_fmac_f32_e32 v15, v15, v18
	v_fmamk_f32 v18, v17, 0x37d75334, v6
	v_cmp_eq_u32_e64 s[4:5], 0, v22
	v_fmaak_f32 v18, v17, v18, 0x3d2aabf7
	v_fmaak_f32 v18, v17, v18, 0xbf000004
	v_cndmask_b32_e64 v19, v20, v19, s[4:5]
	v_xor_b32_e32 v16, v16, v19
	v_fma_f32 v17, v17, v18, 1.0
	v_and_b32_e32 v18, 1, v14
	v_cndmask_b32_e64 v4, v9, v4, s[2:3]
	v_cndmask_b32_e64 v16, v9, v16, s[2:3]
	v_cmp_eq_u32_e64 s[2:3], 0, v18
	v_lshlrev_b32_e32 v14, 30, v14
	v_cndmask_b32_e32 v2, v9, v2, vcc
	v_cndmask_b32_e64 v15, -v15, v17, s[2:3]
	v_bitop3_b32 v14, v14, v15, s46 bitop3:0x6c
	v_cmp_class_f32_e64 s[2:3], v10, s47
	v_xor_b32_e32 v10, v11, v10
	v_lshl_add_u64 v[0:1], v[0:1], 0, s[8:9]
	v_cndmask_b32_e64 v15, v9, v14, s[2:3]
	v_mul_f32_e32 v14, v13, v13
	v_fmamk_f32 v17, v14, 0xb94c1982, v5
	v_fmaak_f32 v17, v14, v17, 0xbe2aaa9d
	v_mul_f32_e32 v17, v14, v17
	v_fmac_f32_e32 v13, v13, v17
	v_fmamk_f32 v17, v14, 0x37d75334, v6
	v_fmaak_f32 v17, v14, v17, 0x3d2aabf7
	v_fmaak_f32 v17, v14, v17, 0xbf000004
	v_fma_f32 v14, v14, v17, 1.0
	v_and_b32_e32 v17, 1, v12
	v_lshlrev_b32_e32 v12, 30, v12
	v_cmp_eq_u32_e64 s[4:5], 0, v17
	v_and_b32_e32 v12, 0x80000000, v12
	v_xor_b32_e32 v10, v10, v12
	v_cndmask_b32_e64 v13, v14, v13, s[4:5]
	v_xor_b32_e32 v10, v10, v13
	v_cndmask_b32_e64 v14, v9, v10, s[2:3]
	v_mul_f32_e32 v10, v24, v24
	v_fmamk_f32 v11, v10, 0xb94c1982, v5
	v_fmaak_f32 v11, v10, v11, 0xbe2aaa9d
	v_mul_f32_e32 v11, v10, v11
	v_fmac_f32_e32 v24, v24, v11
	v_fmamk_f32 v11, v10, 0x37d75334, v6
	v_fmaak_f32 v11, v10, v11, 0x3d2aabf7
	v_fmaak_f32 v11, v10, v11, 0xbf000004
	v_fma_f32 v10, v10, v11, 1.0
	v_and_b32_e32 v11, 1, v23
	v_cmp_eq_u32_e64 s[2:3], 0, v11
	v_lshlrev_b32_e32 v11, 30, v23
	v_pk_mul_f32 v[12:13], v[14:15], v[16:17] op_sel_hi:[1,0]
	v_cndmask_b32_e64 v10, -v24, v10, s[2:3]
	v_bitop3_b32 v10, v11, v10, s46 bitop3:0x6c
	v_cndmask_b32_e32 v10, v9, v10, vcc
	v_pk_mul_f32 v[22:23], v[14:15], v[2:3] op_sel_hi:[1,0]
	v_pk_mul_f32 v[28:29], v[12:13], v[10:11] op_sel_hi:[1,0]
	v_pk_fma_f32 v[30:31], v[12:13], v[10:11], v[22:23] op_sel:[0,0,1] op_sel_hi:[1,0,0]
	v_mul_f32_e32 v18, v4, v10
	s_add_i32 s2, s48, 0x80
	v_sub_f32_e32 v19, v28, v23
	v_mov_b32_e32 v20, v31
	s_waitcnt vmcnt(2)
	scratch_store_dwordx4 off, v[18:21], s2
	v_mul_f32_e32 v22, v4, v2
	s_add_i32 s3, s2, 16
	v_mov_b32_e32 v20, v15
	v_mov_b32_e32 v21, v14
	v_pk_mul_f32 v[10:11], v[20:21], v[10:11] op_sel_hi:[1,0]
	v_pk_mul_f32 v[18:19], v[12:13], v[2:3] op_sel_hi:[1,0]
	v_pk_fma_f32 v[12:13], v[12:13], v[2:3], v[10:11] op_sel_hi:[1,0,1] neg_lo:[0,0,1] neg_hi:[0,0,1]
	v_add_f32_e32 v23, v18, v10
	v_mov_b32_e32 v24, v13
	v_pk_mul_f32 v[10:11], v[14:15], v[4:5] op_sel_hi:[1,0]
	s_waitcnt vmcnt(2)
	scratch_store_dwordx4 off, v[22:25], s3
	s_add_i32 s2, s2, 32
	v_mov_b32_e32 v26, v11
	v_xor_b32_e32 v24, 0x80000000, v16
	v_mov_b32_e32 v25, v10
	s_waitcnt vmcnt(2)
	scratch_store_dwordx4 off, v[24:27], s2
	scratch_store_dword off, v3, s34
	s_add_i32 s48, s48, 48
	s_add_i32 s34, s34, 4
	s_cmpk_lg_i32 s48, 0x600
	s_cbranch_scc0 .LBB5_26
.LBB5_2:                                ; =>This Inner Loop Header: Depth=1
	v_lshl_add_u64 v[10:11], s[20:21], 0, v[0:1]
	global_load_dword v10, v[10:11], off
                                        ; implicit-def: $vgpr12
                                        ; implicit-def: $vgpr13
	s_waitcnt vmcnt(0)
	v_and_b32_e32 v11, 0x7fffffff, v10
	v_lshrrev_b32_e32 v2, 23, v11
	v_and_b32_e32 v4, 0x7fffff, v11
	v_cmp_nlt_f32_e64 s[10:11], |v10|, s35
	v_add_u32_e32 v16, 0xffffff88, v2
	v_or_b32_e32 v4, 0x800000, v4
	s_and_saveexec_b64 s[2:3], s[10:11]
	s_xor_b64 s[12:13], exec, s[2:3]
	s_cbranch_execz .LBB5_4
; %bb.3:                                ;   in Loop: Header=BB5_2 Depth=1
	v_cmp_lt_u32_e32 vcc, 63, v16
	s_nop 1
	v_cndmask_b32_e32 v2, 0, v7, vcc
	v_add_u32_e32 v2, v2, v16
	v_cmp_lt_u32_e64 s[2:3], 31, v2
	s_nop 1
	v_cndmask_b32_e64 v12, 0, v8, s[2:3]
	v_add_u32_e32 v2, v12, v2
	v_cmp_lt_u32_e64 s[4:5], 31, v2
	s_nop 1
	v_cndmask_b32_e64 v12, 0, v8, s[4:5]
	v_add_u32_e32 v17, v12, v2
	v_mad_u64_u32 v[12:13], s[6:7], v4, s36, 0
	v_mov_b32_e32 v2, v13
	v_mad_u64_u32 v[14:15], s[6:7], v4, s37, v[2:3]
	v_mov_b32_e32 v2, v15
	;; [unrolled: 2-line block ×6, first 2 shown]
	v_mad_u64_u32 v[26:27], s[6:7], v4, s42, v[2:3]
	v_cndmask_b32_e32 v13, v24, v20, vcc
	v_cndmask_b32_e32 v2, v26, v22, vcc
	;; [unrolled: 1-line block ×3, first 2 shown]
	v_cndmask_b32_e64 v15, v2, v13, s[2:3]
	v_cndmask_b32_e64 v2, v19, v2, s[2:3]
	v_cndmask_b32_e32 v19, v22, v18, vcc
	v_cndmask_b32_e64 v13, v13, v19, s[2:3]
	v_cndmask_b32_e32 v14, v20, v14, vcc
	v_cndmask_b32_e64 v2, v2, v15, s[4:5]
	v_cndmask_b32_e64 v15, v15, v13, s[4:5]
	v_sub_u32_e32 v21, 32, v17
	v_cmp_eq_u32_e64 s[6:7], 0, v17
	v_cndmask_b32_e64 v17, v19, v14, s[2:3]
	v_alignbit_b32 v22, v2, v15, v21
	v_cndmask_b32_e64 v13, v13, v17, s[4:5]
	v_cndmask_b32_e32 v12, v18, v12, vcc
	v_cndmask_b32_e64 v2, v22, v2, s[6:7]
	v_alignbit_b32 v19, v15, v13, v21
	v_cndmask_b32_e64 v12, v14, v12, s[2:3]
	v_cndmask_b32_e64 v15, v19, v15, s[6:7]
	v_bfe_u32 v22, v2, 29, 1
	v_cndmask_b32_e64 v12, v17, v12, s[4:5]
	v_alignbit_b32 v19, v2, v15, 30
	v_sub_u32_e32 v23, 0, v22
	v_alignbit_b32 v14, v13, v12, v21
	v_xor_b32_e32 v19, v19, v23
	v_cndmask_b32_e64 v13, v14, v13, s[6:7]
	v_alignbit_b32 v14, v15, v13, 30
	v_ffbh_u32_e32 v15, v19
	v_min_u32_e32 v15, 32, v15
	v_alignbit_b32 v12, v13, v12, 30
	v_xor_b32_e32 v14, v14, v23
	v_sub_u32_e32 v17, 31, v15
	v_xor_b32_e32 v12, v12, v23
	v_alignbit_b32 v18, v19, v14, v17
	v_alignbit_b32 v12, v14, v12, v17
	;; [unrolled: 1-line block ×3, first 2 shown]
	v_ffbh_u32_e32 v14, v13
	v_min_u32_e32 v14, 32, v14
	v_lshrrev_b32_e32 v20, 29, v2
	v_not_b32_e32 v17, v14
	v_alignbit_b32 v12, v13, v12, v17
	v_lshlrev_b32_e32 v13, 31, v20
	v_or_b32_e32 v17, 0x33000000, v13
	v_add_lshl_u32 v14, v14, v15, 23
	v_lshrrev_b32_e32 v12, 9, v12
	v_sub_u32_e32 v14, v17, v14
	v_or_b32_e32 v13, 0.5, v13
	v_lshlrev_b32_e32 v15, 23, v15
	v_or_b32_e32 v12, v14, v12
	v_lshrrev_b32_e32 v14, 9, v18
	v_sub_u32_e32 v13, v13, v15
	v_or_b32_e32 v13, v14, v13
	v_mul_f32_e32 v14, 0x3fc90fda, v13
	v_fma_f32 v15, v13, s43, -v14
	v_fmac_f32_e32 v15, 0x33a22168, v13
	v_fmac_f32_e32 v15, 0x3fc90fda, v12
	v_lshrrev_b32_e32 v2, 30, v2
	v_add_f32_e32 v13, v14, v15
	v_add_u32_e32 v12, v22, v2
.LBB5_4:                                ;   in Loop: Header=BB5_2 Depth=1
	s_or_saveexec_b64 s[2:3], s[12:13]
	v_mul_f32_e64 v2, |v10|, s44
	v_rndne_f32_e32 v2, v2
	s_xor_b64 exec, exec, s[2:3]
; %bb.5:                                ;   in Loop: Header=BB5_2 Depth=1
	v_cvt_i32_f32_e32 v12, v2
	v_fma_f32 v13, v2, s45, |v10|
	v_fmac_f32_e32 v13, 0xb3a22168, v2
	v_fmac_f32_e32 v13, 0xa7c234c4, v2
; %bb.6:                                ;   in Loop: Header=BB5_2 Depth=1
	s_or_b64 exec, exec, s[2:3]
                                        ; implicit-def: $vgpr14
                                        ; implicit-def: $vgpr15
	s_and_saveexec_b64 s[2:3], s[10:11]
	s_xor_b64 s[10:11], exec, s[2:3]
	s_cbranch_execz .LBB5_8
; %bb.7:                                ;   in Loop: Header=BB5_2 Depth=1
	v_cmp_lt_u32_e32 vcc, 63, v16
	s_nop 1
	v_cndmask_b32_e32 v2, 0, v7, vcc
	v_add_u32_e32 v2, v2, v16
	v_cmp_lt_u32_e64 s[2:3], 31, v2
	s_nop 1
	v_cndmask_b32_e64 v14, 0, v8, s[2:3]
	v_add_u32_e32 v2, v14, v2
	v_cmp_lt_u32_e64 s[4:5], 31, v2
	s_nop 1
	v_cndmask_b32_e64 v14, 0, v8, s[4:5]
	v_add_u32_e32 v28, v14, v2
	v_mad_u64_u32 v[14:15], s[6:7], v4, s36, 0
	v_mov_b32_e32 v2, v15
	v_mad_u64_u32 v[16:17], s[6:7], v4, s37, v[2:3]
	v_mov_b32_e32 v2, v17
	;; [unrolled: 2-line block ×6, first 2 shown]
	v_mad_u64_u32 v[26:27], s[6:7], v4, s42, v[2:3]
	v_cndmask_b32_e32 v15, v24, v20, vcc
	v_cndmask_b32_e32 v2, v26, v22, vcc
	;; [unrolled: 1-line block ×3, first 2 shown]
	v_cndmask_b32_e64 v4, v2, v15, s[2:3]
	v_cndmask_b32_e64 v2, v17, v2, s[2:3]
	v_cndmask_b32_e32 v17, v22, v18, vcc
	v_cndmask_b32_e64 v15, v15, v17, s[2:3]
	v_cndmask_b32_e32 v16, v20, v16, vcc
	v_cndmask_b32_e64 v2, v2, v4, s[4:5]
	v_cndmask_b32_e64 v4, v4, v15, s[4:5]
	v_sub_u32_e32 v19, 32, v28
	v_cndmask_b32_e64 v17, v17, v16, s[2:3]
	v_alignbit_b32 v21, v2, v4, v19
	v_cmp_eq_u32_e64 s[6:7], 0, v28
	v_cndmask_b32_e64 v15, v15, v17, s[4:5]
	v_alignbit_b32 v20, v4, v15, v19
	v_cndmask_b32_e64 v2, v21, v2, s[6:7]
	v_cndmask_b32_e32 v14, v18, v14, vcc
	v_cndmask_b32_e64 v4, v20, v4, s[6:7]
	v_bfe_u32 v22, v2, 29, 1
	v_cndmask_b32_e64 v14, v16, v14, s[2:3]
	v_alignbit_b32 v20, v2, v4, 30
	v_sub_u32_e32 v23, 0, v22
	v_cndmask_b32_e64 v14, v17, v14, s[4:5]
	v_xor_b32_e32 v20, v20, v23
	v_alignbit_b32 v16, v15, v14, v19
	v_cndmask_b32_e64 v15, v16, v15, s[6:7]
	v_ffbh_u32_e32 v16, v20
	v_alignbit_b32 v4, v4, v15, 30
	v_min_u32_e32 v16, 32, v16
	v_alignbit_b32 v14, v15, v14, 30
	v_xor_b32_e32 v4, v4, v23
	v_sub_u32_e32 v17, 31, v16
	v_xor_b32_e32 v14, v14, v23
	v_alignbit_b32 v18, v20, v4, v17
	v_alignbit_b32 v4, v4, v14, v17
	;; [unrolled: 1-line block ×3, first 2 shown]
	v_ffbh_u32_e32 v15, v14
	v_min_u32_e32 v15, 32, v15
	v_lshrrev_b32_e32 v21, 29, v2
	v_not_b32_e32 v17, v15
	v_alignbit_b32 v4, v14, v4, v17
	v_lshlrev_b32_e32 v14, 31, v21
	v_or_b32_e32 v17, 0x33000000, v14
	v_add_lshl_u32 v15, v15, v16, 23
	v_lshrrev_b32_e32 v4, 9, v4
	v_sub_u32_e32 v15, v17, v15
	v_or_b32_e32 v14, 0.5, v14
	v_lshlrev_b32_e32 v16, 23, v16
	v_or_b32_e32 v4, v15, v4
	v_lshrrev_b32_e32 v15, 9, v18
	v_sub_u32_e32 v14, v14, v16
	v_or_b32_e32 v14, v15, v14
	v_mul_f32_e32 v15, 0x3fc90fda, v14
	v_fma_f32 v16, v14, s43, -v15
	v_fmac_f32_e32 v16, 0x33a22168, v14
	v_fmac_f32_e32 v16, 0x3fc90fda, v4
	v_lshrrev_b32_e32 v2, 30, v2
	v_add_f32_e32 v15, v15, v16
	v_add_u32_e32 v14, v22, v2
                                        ; implicit-def: $vgpr2
	s_andn2_saveexec_b64 s[2:3], s[10:11]
	s_cbranch_execnz .LBB5_9
	s_branch .LBB5_10
.LBB5_8:                                ;   in Loop: Header=BB5_2 Depth=1
	s_andn2_saveexec_b64 s[2:3], s[10:11]
.LBB5_9:                                ;   in Loop: Header=BB5_2 Depth=1
	v_cvt_i32_f32_e32 v14, v2
	v_fma_f32 v15, v2, s45, |v10|
	v_fmac_f32_e32 v15, 0xb3a22168, v2
	v_fmac_f32_e32 v15, 0xa7c234c4, v2
.LBB5_10:                               ;   in Loop: Header=BB5_2 Depth=1
	s_or_b64 exec, exec, s[2:3]
	v_lshl_add_u64 v[16:17], s[22:23], 0, v[0:1]
	global_load_dword v16, v[16:17], off
                                        ; implicit-def: $vgpr18
                                        ; implicit-def: $vgpr19
	s_waitcnt vmcnt(0)
	v_and_b32_e32 v17, 0x7fffffff, v16
	v_lshrrev_b32_e32 v2, 23, v17
	v_and_b32_e32 v4, 0x7fffff, v17
	v_cmp_nlt_f32_e64 s[10:11], |v16|, s35
	v_add_u32_e32 v22, 0xffffff88, v2
	v_or_b32_e32 v21, 0x800000, v4
	s_and_saveexec_b64 s[2:3], s[10:11]
	s_xor_b64 s[12:13], exec, s[2:3]
	s_cbranch_execz .LBB5_12
; %bb.11:                               ;   in Loop: Header=BB5_2 Depth=1
	v_cmp_lt_u32_e32 vcc, 63, v22
	v_mad_u64_u32 v[18:19], s[6:7], v21, s36, 0
	s_nop 0
	v_cndmask_b32_e32 v2, 0, v7, vcc
	v_add_u32_e32 v2, v2, v22
	v_cmp_lt_u32_e64 s[2:3], 31, v2
	s_nop 1
	v_cndmask_b32_e64 v4, 0, v8, s[2:3]
	v_add_u32_e32 v2, v4, v2
	v_cmp_lt_u32_e64 s[4:5], 31, v2
	s_nop 1
	v_cndmask_b32_e64 v4, 0, v8, s[4:5]
	v_add_u32_e32 v4, v4, v2
	v_mov_b32_e32 v2, v19
	v_mad_u64_u32 v[24:25], s[6:7], v21, s37, v[2:3]
	v_mov_b32_e32 v2, v25
	v_mad_u64_u32 v[26:27], s[6:7], v21, s38, v[2:3]
	;; [unrolled: 2-line block ×6, first 2 shown]
	v_cndmask_b32_e32 v19, v32, v28, vcc
	v_cndmask_b32_e32 v2, v34, v30, vcc
	;; [unrolled: 1-line block ×3, first 2 shown]
	v_cndmask_b32_e64 v20, v2, v19, s[2:3]
	v_cndmask_b32_e64 v2, v23, v2, s[2:3]
	v_cndmask_b32_e32 v23, v30, v26, vcc
	v_cndmask_b32_e64 v19, v19, v23, s[2:3]
	v_sub_u32_e32 v25, 32, v4
	v_cmp_eq_u32_e64 s[6:7], 0, v4
	v_cndmask_b32_e32 v4, v28, v24, vcc
	v_cndmask_b32_e64 v2, v2, v20, s[4:5]
	v_cndmask_b32_e64 v20, v20, v19, s[4:5]
	;; [unrolled: 1-line block ×3, first 2 shown]
	v_alignbit_b32 v27, v2, v20, v25
	v_cndmask_b32_e64 v19, v19, v23, s[4:5]
	v_cndmask_b32_e32 v18, v26, v18, vcc
	v_cndmask_b32_e64 v2, v27, v2, s[6:7]
	v_alignbit_b32 v24, v20, v19, v25
	v_cndmask_b32_e64 v4, v4, v18, s[2:3]
	v_cndmask_b32_e64 v20, v24, v20, s[6:7]
	v_bfe_u32 v28, v2, 29, 1
	v_cndmask_b32_e64 v4, v23, v4, s[4:5]
	v_alignbit_b32 v24, v2, v20, 30
	v_sub_u32_e32 v29, 0, v28
	v_alignbit_b32 v18, v19, v4, v25
	v_xor_b32_e32 v24, v24, v29
	v_cndmask_b32_e64 v18, v18, v19, s[6:7]
	v_alignbit_b32 v19, v20, v18, 30
	v_ffbh_u32_e32 v20, v24
	v_min_u32_e32 v20, 32, v20
	v_alignbit_b32 v4, v18, v4, 30
	v_xor_b32_e32 v19, v19, v29
	v_sub_u32_e32 v23, 31, v20
	v_xor_b32_e32 v4, v4, v29
	v_alignbit_b32 v24, v24, v19, v23
	v_alignbit_b32 v4, v19, v4, v23
	;; [unrolled: 1-line block ×3, first 2 shown]
	v_ffbh_u32_e32 v19, v18
	v_min_u32_e32 v19, 32, v19
	v_lshrrev_b32_e32 v27, 29, v2
	v_not_b32_e32 v23, v19
	v_alignbit_b32 v4, v18, v4, v23
	v_lshlrev_b32_e32 v18, 31, v27
	v_or_b32_e32 v23, 0x33000000, v18
	v_add_lshl_u32 v19, v19, v20, 23
	v_lshrrev_b32_e32 v4, 9, v4
	v_sub_u32_e32 v19, v23, v19
	v_or_b32_e32 v18, 0.5, v18
	v_lshlrev_b32_e32 v20, 23, v20
	v_or_b32_e32 v4, v19, v4
	v_lshrrev_b32_e32 v19, 9, v24
	v_sub_u32_e32 v18, v18, v20
	v_or_b32_e32 v18, v19, v18
	v_mul_f32_e32 v19, 0x3fc90fda, v18
	v_fma_f32 v20, v18, s43, -v19
	v_fmac_f32_e32 v20, 0x33a22168, v18
	v_fmac_f32_e32 v20, 0x3fc90fda, v4
	v_lshrrev_b32_e32 v2, 30, v2
	v_add_f32_e32 v19, v19, v20
	v_add_u32_e32 v18, v28, v2
.LBB5_12:                               ;   in Loop: Header=BB5_2 Depth=1
	s_or_saveexec_b64 s[2:3], s[12:13]
	v_mul_f32_e64 v2, |v16|, s44
	v_rndne_f32_e32 v2, v2
	s_xor_b64 exec, exec, s[2:3]
; %bb.13:                               ;   in Loop: Header=BB5_2 Depth=1
	v_cvt_i32_f32_e32 v18, v2
	v_fma_f32 v19, v2, s45, |v16|
	v_fmac_f32_e32 v19, 0xb3a22168, v2
	v_fmac_f32_e32 v19, 0xa7c234c4, v2
; %bb.14:                               ;   in Loop: Header=BB5_2 Depth=1
	s_or_b64 exec, exec, s[2:3]
                                        ; implicit-def: $vgpr4
                                        ; implicit-def: $vgpr20
	s_and_saveexec_b64 s[2:3], s[10:11]
	s_xor_b64 s[10:11], exec, s[2:3]
	s_cbranch_execz .LBB5_16
; %bb.15:                               ;   in Loop: Header=BB5_2 Depth=1
	v_cmp_lt_u32_e32 vcc, 63, v22
	s_nop 1
	v_cndmask_b32_e32 v2, 0, v7, vcc
	v_add_u32_e32 v2, v2, v22
	v_cmp_lt_u32_e64 s[2:3], 31, v2
	v_mad_u64_u32 v[22:23], s[6:7], v21, s36, 0
	s_nop 0
	v_cndmask_b32_e64 v4, 0, v8, s[2:3]
	v_add_u32_e32 v2, v4, v2
	v_cmp_lt_u32_e64 s[4:5], 31, v2
	s_nop 1
	v_cndmask_b32_e64 v4, 0, v8, s[4:5]
	v_add_u32_e32 v4, v4, v2
	v_mov_b32_e32 v2, v23
	v_mad_u64_u32 v[24:25], s[6:7], v21, s37, v[2:3]
	v_mov_b32_e32 v2, v25
	v_mad_u64_u32 v[26:27], s[6:7], v21, s38, v[2:3]
	;; [unrolled: 2-line block ×6, first 2 shown]
	v_cndmask_b32_e32 v23, v32, v28, vcc
	v_cndmask_b32_e32 v2, v20, v30, vcc
	v_cndmask_b32_e32 v21, v21, v32, vcc
	v_cndmask_b32_e64 v20, v2, v23, s[2:3]
	v_cndmask_b32_e64 v2, v21, v2, s[2:3]
	v_cndmask_b32_e32 v21, v30, v26, vcc
	v_cndmask_b32_e64 v23, v23, v21, s[2:3]
	v_sub_u32_e32 v25, 32, v4
	v_cmp_eq_u32_e64 s[6:7], 0, v4
	v_cndmask_b32_e32 v4, v28, v24, vcc
	v_cndmask_b32_e64 v2, v2, v20, s[4:5]
	v_cndmask_b32_e64 v20, v20, v23, s[4:5]
	;; [unrolled: 1-line block ×3, first 2 shown]
	v_alignbit_b32 v27, v2, v20, v25
	v_cndmask_b32_e64 v23, v23, v21, s[4:5]
	v_cndmask_b32_e64 v2, v27, v2, s[6:7]
	v_alignbit_b32 v24, v20, v23, v25
	v_cndmask_b32_e32 v22, v26, v22, vcc
	v_cndmask_b32_e64 v20, v24, v20, s[6:7]
	v_bfe_u32 v28, v2, 29, 1
	v_cndmask_b32_e64 v4, v4, v22, s[2:3]
	v_alignbit_b32 v24, v2, v20, 30
	v_sub_u32_e32 v29, 0, v28
	v_cndmask_b32_e64 v4, v21, v4, s[4:5]
	v_xor_b32_e32 v24, v24, v29
	v_alignbit_b32 v21, v23, v4, v25
	v_cndmask_b32_e64 v21, v21, v23, s[6:7]
	v_ffbh_u32_e32 v22, v24
	v_alignbit_b32 v20, v20, v21, 30
	v_min_u32_e32 v22, 32, v22
	v_alignbit_b32 v4, v21, v4, 30
	v_xor_b32_e32 v20, v20, v29
	v_sub_u32_e32 v23, 31, v22
	v_xor_b32_e32 v4, v4, v29
	v_alignbit_b32 v24, v24, v20, v23
	v_alignbit_b32 v4, v20, v4, v23
	;; [unrolled: 1-line block ×3, first 2 shown]
	v_ffbh_u32_e32 v21, v20
	v_min_u32_e32 v21, 32, v21
	v_lshrrev_b32_e32 v27, 29, v2
	v_not_b32_e32 v23, v21
	v_alignbit_b32 v4, v20, v4, v23
	v_lshlrev_b32_e32 v20, 31, v27
	v_or_b32_e32 v23, 0x33000000, v20
	v_add_lshl_u32 v21, v21, v22, 23
	v_lshrrev_b32_e32 v4, 9, v4
	v_sub_u32_e32 v21, v23, v21
	v_or_b32_e32 v20, 0.5, v20
	v_lshlrev_b32_e32 v22, 23, v22
	v_or_b32_e32 v4, v21, v4
	v_lshrrev_b32_e32 v21, 9, v24
	v_sub_u32_e32 v20, v20, v22
	v_or_b32_e32 v20, v21, v20
	v_mul_f32_e32 v21, 0x3fc90fda, v20
	v_fma_f32 v22, v20, s43, -v21
	v_fmac_f32_e32 v22, 0x33a22168, v20
	v_fmac_f32_e32 v22, 0x3fc90fda, v4
	v_lshrrev_b32_e32 v2, 30, v2
	v_add_f32_e32 v20, v21, v22
	v_add_u32_e32 v4, v28, v2
                                        ; implicit-def: $vgpr2
	s_andn2_saveexec_b64 s[2:3], s[10:11]
	s_cbranch_execnz .LBB5_17
	s_branch .LBB5_18
.LBB5_16:                               ;   in Loop: Header=BB5_2 Depth=1
	s_andn2_saveexec_b64 s[2:3], s[10:11]
.LBB5_17:                               ;   in Loop: Header=BB5_2 Depth=1
	v_cvt_i32_f32_e32 v4, v2
	v_fma_f32 v20, v2, s45, |v16|
	v_fmac_f32_e32 v20, 0xb3a22168, v2
	v_fmac_f32_e32 v20, 0xa7c234c4, v2
.LBB5_18:                               ;   in Loop: Header=BB5_2 Depth=1
	s_or_b64 exec, exec, s[2:3]
	v_lshl_add_u64 v[22:23], s[24:25], 0, v[0:1]
	global_load_dword v21, v[22:23], off
                                        ; implicit-def: $vgpr25
                                        ; implicit-def: $vgpr26
	s_waitcnt vmcnt(0)
	v_and_b32_e32 v22, 0x7fffffff, v21
	v_lshrrev_b32_e32 v2, 23, v22
	v_and_b32_e32 v23, 0x7fffff, v22
	v_cmp_nlt_f32_e64 s[10:11], |v21|, s35
	v_add_u32_e32 v28, 0xffffff88, v2
	v_or_b32_e32 v27, 0x800000, v23
	s_and_saveexec_b64 s[2:3], s[10:11]
	s_xor_b64 s[12:13], exec, s[2:3]
	s_cbranch_execz .LBB5_20
; %bb.19:                               ;   in Loop: Header=BB5_2 Depth=1
	v_cmp_lt_u32_e32 vcc, 63, v28
	v_mad_u64_u32 v[24:25], s[6:7], v27, s36, 0
	s_nop 0
	v_cndmask_b32_e32 v2, 0, v7, vcc
	v_add_u32_e32 v2, v2, v28
	v_cmp_lt_u32_e64 s[2:3], 31, v2
	s_nop 1
	v_cndmask_b32_e64 v23, 0, v8, s[2:3]
	v_add_u32_e32 v2, v23, v2
	v_cmp_lt_u32_e64 s[4:5], 31, v2
	s_nop 1
	v_cndmask_b32_e64 v23, 0, v8, s[4:5]
	v_add_u32_e32 v23, v23, v2
	v_mov_b32_e32 v2, v25
	v_mad_u64_u32 v[30:31], s[6:7], v27, s37, v[2:3]
	v_mov_b32_e32 v2, v31
	v_mad_u64_u32 v[32:33], s[6:7], v27, s38, v[2:3]
	;; [unrolled: 2-line block ×6, first 2 shown]
	v_cndmask_b32_e32 v25, v38, v34, vcc
	v_cndmask_b32_e32 v2, v40, v36, vcc
	;; [unrolled: 1-line block ×3, first 2 shown]
	v_cndmask_b32_e64 v26, v2, v25, s[2:3]
	v_cndmask_b32_e64 v2, v29, v2, s[2:3]
	v_cndmask_b32_e32 v29, v36, v32, vcc
	v_cndmask_b32_e64 v25, v25, v29, s[2:3]
	v_sub_u32_e32 v31, 32, v23
	v_cmp_eq_u32_e64 s[6:7], 0, v23
	v_cndmask_b32_e32 v23, v34, v30, vcc
	v_cndmask_b32_e64 v2, v2, v26, s[4:5]
	v_cndmask_b32_e64 v26, v26, v25, s[4:5]
	;; [unrolled: 1-line block ×3, first 2 shown]
	v_alignbit_b32 v33, v2, v26, v31
	v_cndmask_b32_e64 v25, v25, v29, s[4:5]
	v_cndmask_b32_e32 v24, v32, v24, vcc
	v_cndmask_b32_e64 v2, v33, v2, s[6:7]
	v_alignbit_b32 v30, v26, v25, v31
	v_cndmask_b32_e64 v23, v23, v24, s[2:3]
	v_cndmask_b32_e64 v26, v30, v26, s[6:7]
	v_bfe_u32 v34, v2, 29, 1
	v_cndmask_b32_e64 v23, v29, v23, s[4:5]
	v_alignbit_b32 v30, v2, v26, 30
	v_sub_u32_e32 v35, 0, v34
	v_alignbit_b32 v24, v25, v23, v31
	v_xor_b32_e32 v30, v30, v35
	v_cndmask_b32_e64 v24, v24, v25, s[6:7]
	v_alignbit_b32 v25, v26, v24, 30
	v_ffbh_u32_e32 v26, v30
	v_min_u32_e32 v26, 32, v26
	v_alignbit_b32 v23, v24, v23, 30
	v_xor_b32_e32 v25, v25, v35
	v_sub_u32_e32 v29, 31, v26
	v_xor_b32_e32 v23, v23, v35
	v_alignbit_b32 v30, v30, v25, v29
	v_alignbit_b32 v23, v25, v23, v29
	;; [unrolled: 1-line block ×3, first 2 shown]
	v_ffbh_u32_e32 v25, v24
	v_min_u32_e32 v25, 32, v25
	v_lshrrev_b32_e32 v33, 29, v2
	v_not_b32_e32 v29, v25
	v_alignbit_b32 v23, v24, v23, v29
	v_lshlrev_b32_e32 v24, 31, v33
	v_or_b32_e32 v29, 0x33000000, v24
	v_add_lshl_u32 v25, v25, v26, 23
	v_lshrrev_b32_e32 v23, 9, v23
	v_sub_u32_e32 v25, v29, v25
	v_or_b32_e32 v24, 0.5, v24
	v_lshlrev_b32_e32 v26, 23, v26
	v_or_b32_e32 v23, v25, v23
	v_lshrrev_b32_e32 v25, 9, v30
	v_sub_u32_e32 v24, v24, v26
	v_or_b32_e32 v24, v25, v24
	v_mul_f32_e32 v25, 0x3fc90fda, v24
	v_fma_f32 v26, v24, s43, -v25
	v_fmac_f32_e32 v26, 0x33a22168, v24
	v_fmac_f32_e32 v26, 0x3fc90fda, v23
	v_lshrrev_b32_e32 v2, 30, v2
	v_add_f32_e32 v26, v25, v26
	v_add_u32_e32 v25, v34, v2
.LBB5_20:                               ;   in Loop: Header=BB5_2 Depth=1
	s_or_saveexec_b64 s[2:3], s[12:13]
	v_mul_f32_e64 v2, |v21|, s44
	v_rndne_f32_e32 v2, v2
	s_xor_b64 exec, exec, s[2:3]
; %bb.21:                               ;   in Loop: Header=BB5_2 Depth=1
	v_cvt_i32_f32_e32 v25, v2
	v_fma_f32 v26, v2, s45, |v21|
	v_fmac_f32_e32 v26, 0xb3a22168, v2
	v_fmac_f32_e32 v26, 0xa7c234c4, v2
; %bb.22:                               ;   in Loop: Header=BB5_2 Depth=1
	s_or_b64 exec, exec, s[2:3]
                                        ; implicit-def: $vgpr23
                                        ; implicit-def: $vgpr24
	s_and_saveexec_b64 s[2:3], s[10:11]
	s_xor_b64 s[10:11], exec, s[2:3]
	s_cbranch_execz .LBB5_24
; %bb.23:                               ;   in Loop: Header=BB5_2 Depth=1
	v_cmp_lt_u32_e32 vcc, 63, v28
	s_nop 1
	v_cndmask_b32_e32 v2, 0, v7, vcc
	v_add_u32_e32 v2, v2, v28
	v_cmp_lt_u32_e64 s[2:3], 31, v2
	v_mad_u64_u32 v[28:29], s[6:7], v27, s36, 0
	s_nop 0
	v_cndmask_b32_e64 v23, 0, v8, s[2:3]
	v_add_u32_e32 v2, v23, v2
	v_cmp_lt_u32_e64 s[4:5], 31, v2
	s_nop 1
	v_cndmask_b32_e64 v23, 0, v8, s[4:5]
	v_add_u32_e32 v23, v23, v2
	v_mov_b32_e32 v2, v29
	v_mad_u64_u32 v[30:31], s[6:7], v27, s37, v[2:3]
	v_mov_b32_e32 v2, v31
	v_mad_u64_u32 v[32:33], s[6:7], v27, s38, v[2:3]
	;; [unrolled: 2-line block ×6, first 2 shown]
	v_cndmask_b32_e32 v24, v38, v34, vcc
	v_cndmask_b32_e32 v2, v40, v36, vcc
	;; [unrolled: 1-line block ×3, first 2 shown]
	v_cndmask_b32_e64 v27, v2, v24, s[2:3]
	v_cndmask_b32_e64 v2, v29, v2, s[2:3]
	v_cndmask_b32_e32 v29, v36, v32, vcc
	v_cndmask_b32_e64 v24, v24, v29, s[2:3]
	v_sub_u32_e32 v31, 32, v23
	v_cmp_eq_u32_e64 s[6:7], 0, v23
	v_cndmask_b32_e32 v23, v34, v30, vcc
	v_cndmask_b32_e64 v2, v2, v27, s[4:5]
	v_cndmask_b32_e64 v27, v27, v24, s[4:5]
	;; [unrolled: 1-line block ×3, first 2 shown]
	v_alignbit_b32 v33, v2, v27, v31
	v_cndmask_b32_e64 v24, v24, v29, s[4:5]
	v_cndmask_b32_e64 v2, v33, v2, s[6:7]
	v_alignbit_b32 v30, v27, v24, v31
	v_cndmask_b32_e32 v28, v32, v28, vcc
	v_cndmask_b32_e64 v27, v30, v27, s[6:7]
	v_bfe_u32 v34, v2, 29, 1
	v_cndmask_b32_e64 v23, v23, v28, s[2:3]
	v_alignbit_b32 v30, v2, v27, 30
	v_sub_u32_e32 v35, 0, v34
	v_cndmask_b32_e64 v23, v29, v23, s[4:5]
	v_xor_b32_e32 v30, v30, v35
	v_alignbit_b32 v28, v24, v23, v31
	v_cndmask_b32_e64 v24, v28, v24, s[6:7]
	v_ffbh_u32_e32 v28, v30
	v_alignbit_b32 v27, v27, v24, 30
	v_min_u32_e32 v28, 32, v28
	v_alignbit_b32 v23, v24, v23, 30
	v_xor_b32_e32 v27, v27, v35
	v_sub_u32_e32 v29, 31, v28
	v_xor_b32_e32 v23, v23, v35
	v_alignbit_b32 v30, v30, v27, v29
	v_alignbit_b32 v23, v27, v23, v29
	;; [unrolled: 1-line block ×3, first 2 shown]
	v_ffbh_u32_e32 v27, v24
	v_min_u32_e32 v27, 32, v27
	v_lshrrev_b32_e32 v33, 29, v2
	v_not_b32_e32 v29, v27
	v_alignbit_b32 v23, v24, v23, v29
	v_lshlrev_b32_e32 v24, 31, v33
	v_or_b32_e32 v29, 0x33000000, v24
	v_add_lshl_u32 v27, v27, v28, 23
	v_lshrrev_b32_e32 v23, 9, v23
	v_sub_u32_e32 v27, v29, v27
	v_or_b32_e32 v24, 0.5, v24
	v_lshlrev_b32_e32 v28, 23, v28
	v_or_b32_e32 v23, v27, v23
	v_lshrrev_b32_e32 v27, 9, v30
	v_sub_u32_e32 v24, v24, v28
	v_or_b32_e32 v24, v27, v24
	v_mul_f32_e32 v27, 0x3fc90fda, v24
	v_fma_f32 v28, v24, s43, -v27
	v_fmac_f32_e32 v28, 0x33a22168, v24
	v_fmac_f32_e32 v28, 0x3fc90fda, v23
	v_lshrrev_b32_e32 v2, 30, v2
	v_add_f32_e32 v24, v27, v28
	v_add_u32_e32 v23, v34, v2
                                        ; implicit-def: $vgpr2
	s_andn2_saveexec_b64 s[2:3], s[10:11]
	s_cbranch_execz .LBB5_1
	s_branch .LBB5_25
.LBB5_24:                               ;   in Loop: Header=BB5_2 Depth=1
	s_andn2_saveexec_b64 s[2:3], s[10:11]
	s_cbranch_execz .LBB5_1
.LBB5_25:                               ;   in Loop: Header=BB5_2 Depth=1
	v_cvt_i32_f32_e32 v23, v2
	v_fma_f32 v24, v2, s45, |v21|
	v_fmac_f32_e32 v24, 0xb3a22168, v2
	v_fmac_f32_e32 v24, 0xa7c234c4, v2
	s_branch .LBB5_1
.LBB5_26:
	scratch_load_dwordx4 v[0:3], off, off offset:464
	scratch_load_dwordx4 v[4:7], off, off offset:496
	;; [unrolled: 1-line block ×16, first 2 shown]
	s_load_dwordx2 s[2:3], s[0:1], 0x0
	s_load_dwordx4 s[20:23], s[0:1], 0x48
	scratch_load_dwordx4 v[64:67], off, off offset:144
	s_mov_b32 s27, 0
	s_movk_i32 s37, 0x46
	s_waitcnt lgkmcnt(0)
	s_max_i32 s29, s3, 1
	s_max_i32 s36, s2, 1
	s_add_u32 s24, s16, 8
	s_addc_u32 s25, s17, 0
	s_movk_i32 s38, 0x45
	s_mov_b32 s39, 0xf800000
	s_mov_b32 s28, 0x42340000
	s_mov_b32 s26, s27
	v_mov_b32_e32 v86, 0x260
	v_mov_b32_e32 v87, 0x42980000
	s_waitcnt vmcnt(0)
	scratch_store_dwordx4 off, v[64:67], off offset:2048 ; 16-byte Folded Spill
	scratch_load_dwordx4 v[64:67], off, off offset:192
	s_waitcnt vmcnt(0)
	scratch_store_dwordx4 off, v[64:67], off offset:2064 ; 16-byte Folded Spill
	scratch_load_dwordx4 v[64:67], off, off offset:240
	s_waitcnt vmcnt(0)
	scratch_store_dwordx4 off, v[64:67], off offset:2080 ; 16-byte Folded Spill
	scratch_load_dwordx4 v[64:67], off, off offset:288
	s_waitcnt vmcnt(0)
	scratch_store_dwordx4 off, v[64:67], off offset:2096 ; 16-byte Folded Spill
	scratch_load_dwordx4 v[64:67], off, off offset:336
	s_waitcnt vmcnt(0)
	scratch_store_dwordx4 off, v[64:67], off offset:2112 ; 16-byte Folded Spill
	scratch_load_dwordx4 v[64:67], off, off offset:384
	s_waitcnt vmcnt(0)
	scratch_store_dwordx4 off, v[64:67], off offset:2128 ; 16-byte Folded Spill
	scratch_load_dwordx4 v[64:67], off, off offset:432
	s_waitcnt vmcnt(0)
	scratch_store_dwordx4 off, v[64:67], off offset:2144 ; 16-byte Folded Spill
	scratch_load_dwordx4 v[64:67], off, off offset:480
	s_waitcnt vmcnt(0)
	scratch_store_dwordx4 off, v[64:67], off offset:2160 ; 16-byte Folded Spill
	s_nop 1
	v_mov_b32_e32 v64, v3
	v_mov_b32_e32 v65, v7
	;; [unrolled: 1-line block ×3, first 2 shown]
	scratch_store_dwordx2 off, v[64:65], off offset:2176 ; 8-byte Folded Spill
	v_mov_b32_e32 v64, v0
	v_mov_b32_e32 v65, v4
	;; [unrolled: 1-line block ×3, first 2 shown]
	scratch_store_dwordx4 off, v[0:3], off offset:1792 ; 16-byte Folded Spill
	scratch_store_dwordx2 off, v[64:65], off offset:2184 ; 8-byte Folded Spill
	scratch_store_dwordx4 off, v[4:7], off offset:1808 ; 16-byte Folded Spill
	v_mov_b32_e32 v0, v11
	v_mov_b32_e32 v1, v15
	scratch_store_dwordx2 off, v[0:1], off offset:2192 ; 8-byte Folded Spill
	v_mov_b32_e32 v0, v8
	v_mov_b32_e32 v1, v12
	scratch_store_dwordx2 off, v[0:1], off offset:2200 ; 8-byte Folded Spill
	v_mov_b32_e32 v0, v19
	v_mov_b32_e32 v1, v23
	scratch_store_dwordx2 off, v[0:1], off offset:2208 ; 8-byte Folded Spill
	v_mov_b32_e32 v0, v16
	v_mov_b32_e32 v1, v20
	scratch_store_dwordx2 off, v[0:1], off offset:2216 ; 8-byte Folded Spill
	v_mov_b32_e32 v0, v27
	v_mov_b32_e32 v1, v31
	scratch_store_dwordx2 off, v[0:1], off offset:2224 ; 8-byte Folded Spill
	v_mov_b32_e32 v0, v24
	v_mov_b32_e32 v1, v28
	scratch_store_dwordx2 off, v[0:1], off offset:2232 ; 8-byte Folded Spill
	v_mov_b32_e32 v0, v35
	v_mov_b32_e32 v1, v39
	scratch_store_dwordx2 off, v[0:1], off offset:2240 ; 8-byte Folded Spill
	v_mov_b32_e32 v0, v32
	v_mov_b32_e32 v1, v36
	scratch_store_dwordx2 off, v[0:1], off offset:2248 ; 8-byte Folded Spill
	v_mov_b32_e32 v0, v43
	v_mov_b32_e32 v1, v47
	scratch_store_dwordx2 off, v[0:1], off offset:2256 ; 8-byte Folded Spill
	v_mov_b32_e32 v0, v40
	v_mov_b32_e32 v1, v44
	scratch_store_dwordx2 off, v[0:1], off offset:2264 ; 8-byte Folded Spill
	v_mov_b32_e32 v0, v51
	v_mov_b32_e32 v1, v55
	scratch_store_dwordx2 off, v[0:1], off offset:2272 ; 8-byte Folded Spill
	v_mov_b32_e32 v0, v48
	v_mov_b32_e32 v1, v52
	scratch_store_dwordx2 off, v[0:1], off offset:2280 ; 8-byte Folded Spill
	v_mov_b32_e32 v0, v59
	v_mov_b32_e32 v1, v63
	;; [unrolled: 1-line block ×14, first 2 shown]
	scratch_store_dwordx2 off, v[0:1], off offset:2288 ; 8-byte Folded Spill
	v_mov_b32_e32 v0, v56
	v_mov_b32_e32 v1, v60
	;; [unrolled: 1-line block ×4, first 2 shown]
	scratch_store_dwordx4 off, v[12:15], off offset:1840 ; 16-byte Folded Spill
	scratch_store_dwordx4 off, v[8:11], off offset:1824 ; 16-byte Folded Spill
	;; [unrolled: 1-line block ×12, first 2 shown]
	scratch_store_dwordx2 off, v[0:1], off offset:2296 ; 8-byte Folded Spill
	scratch_store_dwordx4 off, v[60:63], off offset:2032 ; 16-byte Folded Spill
	scratch_store_dwordx4 off, v[56:59], off offset:2016 ; 16-byte Folded Spill
	scratch_load_dwordx4 v[0:3], off, off offset:512
	s_nop 0
	scratch_load_dwordx4 v[4:7], off, off offset:528
	v_mov_b32_e32 v52, 0
	s_waitcnt vmcnt(0)
	scratch_store_dwordx4 off, v[4:7], off offset:2320 ; 16-byte Folded Spill
	scratch_load_dwordx4 v[6:9], off, off offset:544
	s_nop 0
	scratch_load_dwordx4 v[10:13], off, off offset:560
	v_mov_b32_e32 v4, v0
	s_waitcnt vmcnt(1)
	v_mov_b32_e32 v5, v6
	v_mov_b32_e32 v6, v1
	v_mov_b64_e32 v[0:1], v[6:7]
	scratch_store_dwordx2 off, v[4:5], off offset:2336 ; 8-byte Folded Spill
	v_mov_b32_e32 v4, v3
	v_mov_b32_e32 v5, v9
	scratch_store_dwordx4 off, v[0:3], off offset:2344 ; 16-byte Folded Spill
	scratch_store_dwordx2 off, v[4:5], off offset:2376 ; 8-byte Folded Spill
	s_nop 0
	v_mov_b32_e32 v3, v8
	scratch_store_dwordx4 off, v[0:3], off offset:2304 ; 16-byte Folded Spill
	scratch_load_dwordx4 v[2:5], off, off offset:592
	s_nop 0
	scratch_load_dwordx4 v[6:9], off, off offset:576
	s_waitcnt vmcnt(6)
	v_mov_b32_e32 v0, v10
	s_waitcnt vmcnt(1)
	v_mov_b32_e32 v1, v2
	scratch_store_dwordx2 off, v[0:1], off offset:2384 ; 8-byte Folded Spill
	v_mov_b32_e32 v0, v13
	v_mov_b32_e32 v1, v5
	v_mov_b32_e32 v2, v11
	scratch_store_dwordx2 off, v[0:1], off offset:2424 ; 8-byte Folded Spill
	v_mov_b64_e32 v[0:1], v[2:3]
	v_mov_b32_e32 v13, v4
	s_waitcnt vmcnt(2)
	scratch_store_dwordx4 off, v[6:9], off offset:2408 ; 16-byte Folded Spill
	scratch_store_dwordx4 off, v[0:3], off offset:2392 ; 16-byte Folded Spill
	scratch_store_dwordx4 off, v[10:13], off offset:2360 ; 16-byte Folded Spill
	scratch_load_dwordx4 v[0:3], off, off offset:608
	s_nop 0
	scratch_load_dwordx4 v[4:7], off, off offset:624
	s_waitcnt vmcnt(0)
	scratch_store_dwordx4 off, v[4:7], off offset:2448 ; 16-byte Folded Spill
	scratch_load_dwordx4 v[6:9], off, off offset:640
	s_nop 0
	scratch_load_dwordx4 v[10:13], off, off offset:656
	v_mov_b32_e32 v4, v0
	s_waitcnt vmcnt(1)
	v_mov_b32_e32 v5, v6
	v_mov_b32_e32 v6, v1
	v_mov_b64_e32 v[0:1], v[6:7]
	scratch_store_dwordx2 off, v[4:5], off offset:2464 ; 8-byte Folded Spill
	v_mov_b32_e32 v4, v3
	v_mov_b32_e32 v5, v9
	scratch_store_dwordx4 off, v[0:3], off offset:2472 ; 16-byte Folded Spill
	scratch_store_dwordx2 off, v[4:5], off offset:2504 ; 8-byte Folded Spill
	s_nop 0
	v_mov_b32_e32 v3, v8
	scratch_store_dwordx4 off, v[0:3], off offset:2432 ; 16-byte Folded Spill
	scratch_load_dwordx4 v[2:5], off, off offset:688
	s_nop 0
	scratch_load_dwordx4 v[6:9], off, off offset:672
	s_waitcnt vmcnt(6)
	v_mov_b32_e32 v0, v10
	s_waitcnt vmcnt(1)
	v_mov_b32_e32 v1, v2
	scratch_store_dwordx2 off, v[0:1], off offset:2512 ; 8-byte Folded Spill
	v_mov_b32_e32 v0, v13
	v_mov_b32_e32 v1, v5
	v_mov_b32_e32 v2, v11
	scratch_store_dwordx2 off, v[0:1], off offset:2552 ; 8-byte Folded Spill
	v_mov_b64_e32 v[0:1], v[2:3]
	v_mov_b32_e32 v13, v4
	s_waitcnt vmcnt(2)
	scratch_store_dwordx4 off, v[6:9], off offset:2536 ; 16-byte Folded Spill
	scratch_store_dwordx4 off, v[0:3], off offset:2520 ; 16-byte Folded Spill
	scratch_store_dwordx4 off, v[10:13], off offset:2488 ; 16-byte Folded Spill
	scratch_load_dwordx4 v[0:3], off, off offset:704
	s_nop 0
	scratch_load_dwordx4 v[4:7], off, off offset:720
	;; [unrolled: 39-line block ×11, first 2 shown]
	s_waitcnt vmcnt(0)
	scratch_store_dwordx4 off, v[4:7], off offset:3728 ; 16-byte Folded Spill
	scratch_load_dwordx4 v[6:9], off, off offset:1600
	s_nop 0
	scratch_load_dwordx4 v[10:13], off, off offset:1616
	v_mov_b32_e32 v4, v0
	s_waitcnt vmcnt(1)
	v_mov_b32_e32 v5, v6
	v_mov_b32_e32 v6, v1
	v_mov_b64_e32 v[0:1], v[6:7]
	scratch_store_dwordx2 off, v[4:5], off offset:3744 ; 8-byte Folded Spill
	v_mov_b32_e32 v4, v3
	v_mov_b32_e32 v5, v9
	scratch_store_dwordx4 off, v[0:3], off offset:3752 ; 16-byte Folded Spill
	scratch_store_dwordx2 off, v[4:5], off offset:3784 ; 8-byte Folded Spill
	s_nop 0
	v_mov_b32_e32 v3, v8
	scratch_store_dwordx4 off, v[0:3], off offset:3712 ; 16-byte Folded Spill
	scratch_load_dwordx4 v[2:5], off, off offset:1648
	s_nop 0
	scratch_load_dwordx4 v[6:9], off, off offset:1632
	s_waitcnt vmcnt(6)
	v_mov_b32_e32 v0, v10
	s_waitcnt vmcnt(1)
	v_mov_b32_e32 v1, v2
	scratch_store_dwordx2 off, v[0:1], off offset:3792 ; 8-byte Folded Spill
	v_mov_b32_e32 v0, v13
	v_mov_b32_e32 v1, v5
	v_mov_b32_e32 v2, v11
	scratch_store_dwordx2 off, v[0:1], off offset:3832 ; 8-byte Folded Spill
	v_mov_b64_e32 v[0:1], v[2:3]
	v_mov_b32_e32 v13, v4
	s_waitcnt vmcnt(2)
	scratch_store_dwordx4 off, v[6:9], off offset:3816 ; 16-byte Folded Spill
	scratch_store_dwordx4 off, v[0:3], off offset:3800 ; 16-byte Folded Spill
	;; [unrolled: 1-line block ×3, first 2 shown]
	scratch_load_dwordx4 v[58:61], off, off
	scratch_load_dwordx4 v[40:43], off, off offset:16
	scratch_load_dwordx4 v[34:37], off, off offset:32
	;; [unrolled: 1-line block ×7, first 2 shown]
.LBB5_27:                               ; =>This Loop Header: Depth=1
                                        ;     Child Loop BB5_28 Depth 2
	s_lshl_b64 s[0:1], s[26:27], 4
	s_add_u32 s0, s18, s0
	s_addc_u32 s1, s19, s1
	global_load_dwordx4 v[116:119], v52, s[0:1]
	scratch_load_dwordx4 v[30:33], off, off offset:2048 ; 16-byte Folded Reload
	scratch_load_dwordx2 v[0:1], off, off offset:2288 ; 8-byte Folded Reload
	scratch_load_dwordx2 v[2:3], off, off offset:2296 ; 8-byte Folded Reload
	s_mov_b32 s40, s29
	s_mov_b64 s[30:31], s[24:25]
	s_waitcnt vmcnt(3)
	v_ashrrev_i32_e32 v85, 31, v119
	s_waitcnt vmcnt(2)
	v_fma_f32 v88, v116, v30, v33
	s_waitcnt vmcnt(0)
	v_pk_fma_f32 v[0:1], v[116:117], v[2:3], v[0:1] op_sel_hi:[0,1,1]
	scratch_load_dwordx4 v[2:5], off, off offset:2032 ; 16-byte Folded Reload
	v_mov_b32_e32 v33, v52
	scratch_load_dwordx4 v[50:53], off, off offset:2064 ; 16-byte Folded Reload
	v_fmac_f32_e32 v88, v117, v31
	v_fmac_f32_e32 v88, v118, v32
	v_mov_b32_e32 v84, v119
	s_waitcnt vmcnt(1)
	v_pk_fma_f32 v[0:1], v[116:117], v[2:3], v[0:1] op_sel:[1,0,0]
	scratch_load_dwordx2 v[2:3], off, off offset:2272 ; 8-byte Folded Reload
	scratch_load_dwordx2 v[4:5], off, off offset:2280 ; 8-byte Folded Reload
	s_waitcnt vmcnt(2)
	v_fma_f32 v89, v116, v50, v53
	v_fmac_f32_e32 v89, v117, v51
	v_fmac_f32_e32 v89, v118, v52
	v_mov_b32_e32 v52, v33
	scratch_load_dwordx4 v[54:57], off, off offset:2080 ; 16-byte Folded Reload
	s_waitcnt vmcnt(1)
	v_pk_fma_f32 v[2:3], v[116:117], v[4:5], v[2:3] op_sel_hi:[0,1,1]
	scratch_load_dwordx4 v[4:7], off, off offset:2000 ; 16-byte Folded Reload
	s_waitcnt vmcnt(1)
	v_fma_f32 v54, v116, v54, v57
	v_fmac_f32_e32 v54, v117, v55
	v_fmac_f32_e32 v54, v118, v56
	s_waitcnt vmcnt(0)
	v_pk_fma_f32 v[2:3], v[116:117], v[4:5], v[2:3] op_sel:[1,0,0]
	scratch_load_dwordx2 v[4:5], off, off offset:2256 ; 8-byte Folded Reload
	scratch_load_dwordx2 v[6:7], off, off offset:2264 ; 8-byte Folded Reload
	scratch_load_dwordx4 v[62:65], off, off offset:2096 ; 16-byte Folded Reload
	s_waitcnt vmcnt(1)
	v_pk_fma_f32 v[4:5], v[116:117], v[6:7], v[4:5] op_sel_hi:[0,1,1]
	scratch_load_dwordx4 v[6:9], off, off offset:1968 ; 16-byte Folded Reload
	s_waitcnt vmcnt(1)
	v_fma_f32 v55, v116, v62, v65
	v_fmac_f32_e32 v55, v117, v63
	v_fmac_f32_e32 v55, v118, v64
	s_waitcnt vmcnt(0)
	v_pk_fma_f32 v[4:5], v[116:117], v[6:7], v[4:5] op_sel:[1,0,0]
	scratch_load_dwordx2 v[6:7], off, off offset:2240 ; 8-byte Folded Reload
	scratch_load_dwordx2 v[8:9], off, off offset:2248 ; 8-byte Folded Reload
	;; [unrolled: 12-line block ×4, first 2 shown]
	scratch_load_dwordx4 v[18:21], off, off offset:1872 ; 16-byte Folded Reload
	scratch_load_dwordx4 v[76:79], off, off offset:2144 ; 16-byte Folded Reload
	s_waitcnt vmcnt(2)
	v_pk_fma_f32 v[10:11], v[116:117], v[12:13], v[10:11] op_sel_hi:[0,1,1]
	s_waitcnt vmcnt(1)
	v_pk_fma_f32 v[10:11], v[116:117], v[18:19], v[10:11] op_sel:[1,0,0]
	scratch_load_dwordx2 v[12:13], off, off offset:2192 ; 8-byte Folded Reload
	scratch_load_dwordx2 v[18:19], off, off offset:2200 ; 8-byte Folded Reload
	s_waitcnt vmcnt(2)
	v_fma_f32 v62, v116, v76, v79
	v_fmac_f32_e32 v62, v117, v77
	v_fmac_f32_e32 v62, v118, v78
	scratch_load_dwordx4 v[80:83], off, off offset:2160 ; 16-byte Folded Reload
	s_waitcnt vmcnt(1)
	v_pk_fma_f32 v[12:13], v[116:117], v[18:19], v[12:13] op_sel_hi:[0,1,1]
	scratch_load_dwordx4 v[18:21], off, off offset:1840 ; 16-byte Folded Reload
	s_waitcnt vmcnt(1)
	v_fma_f32 v63, v116, v80, v83
	v_fmac_f32_e32 v63, v117, v81
	v_fmac_f32_e32 v63, v118, v82
	s_waitcnt vmcnt(0)
	v_pk_fma_f32 v[12:13], v[116:117], v[18:19], v[12:13] op_sel:[1,0,0]
	scratch_load_dwordx2 v[18:19], off, off offset:2176 ; 8-byte Folded Reload
	scratch_load_dwordx2 v[20:21], off, off offset:2184 ; 8-byte Folded Reload
	scratch_load_dwordx4 v[112:115], off, off offset:2320 ; 16-byte Folded Reload
	s_waitcnt vmcnt(1)
	v_pk_fma_f32 v[18:19], v[116:117], v[20:21], v[18:19] op_sel_hi:[0,1,1]
	scratch_load_dwordx4 v[20:23], off, off offset:1808 ; 16-byte Folded Reload
	s_waitcnt vmcnt(1)
	v_fma_f32 v65, v116, v112, v115
	v_fmac_f32_e32 v65, v117, v113
	v_fmac_f32_e32 v65, v118, v114
	s_waitcnt vmcnt(0)
	v_pk_fma_f32 v[18:19], v[116:117], v[20:21], v[18:19] op_sel:[1,0,0]
	scratch_load_dwordx2 v[20:21], off, off offset:2336 ; 8-byte Folded Reload
	scratch_load_dwordx2 v[22:23], off, off offset:2376 ; 8-byte Folded Reload
	;; [unrolled: 12-line block ×4, first 2 shown]
	scratch_load_dwordx4 v[14:17], off, off offset:2536 ; 16-byte Folded Reload
	s_waitcnt vmcnt(1)
	v_pk_fma_f32 v[22:23], v[116:117], v[22:23], v[26:27] op_sel_hi:[0,1,1]
	scratch_load_dwordx4 v[26:29], off, off offset:2472 ; 16-byte Folded Reload
	s_waitcnt vmcnt(0)
	v_pk_fma_f32 v[26:27], v[116:117], v[26:27], v[22:23] op_sel:[1,0,0]
	v_fma_f32 v22, v116, v14, v17
	v_fmac_f32_e32 v22, v117, v15
	scratch_load_dwordx2 v[28:29], off, off offset:2512 ; 8-byte Folded Reload
	scratch_load_dwordx2 v[14:15], off, off offset:2552 ; 8-byte Folded Reload
	scratch_load_dwordx4 v[48:51], off, off offset:2520 ; 16-byte Folded Reload
	scratch_load_dwordx4 v[98:101], off, off offset:2576 ; 16-byte Folded Reload
	v_fmac_f32_e32 v22, v118, v16
	s_waitcnt vmcnt(2)
	v_pk_fma_f32 v[28:29], v[116:117], v[28:29], v[14:15] op_sel_hi:[0,1,1]
	scratch_load_dwordx2 v[14:15], off, off offset:2592 ; 8-byte Folded Reload
	scratch_load_dwordx2 v[30:31], off, off offset:2632 ; 8-byte Folded Reload
	s_waitcnt vmcnt(3)
	v_pk_fma_f32 v[28:29], v[116:117], v[48:49], v[28:29] op_sel:[1,0,0]
	scratch_load_dwordx4 v[48:51], off, off offset:2600 ; 16-byte Folded Reload
	scratch_load_dwordx4 v[74:77], off, off offset:2664 ; 16-byte Folded Reload
	s_waitcnt vmcnt(4)
	v_fma_f32 v23, v116, v98, v101
	v_fmac_f32_e32 v23, v117, v99
	v_fmac_f32_e32 v23, v118, v100
	s_waitcnt vmcnt(2)
	v_pk_fma_f32 v[30:31], v[116:117], v[14:15], v[30:31] op_sel_hi:[0,1,1]
	s_waitcnt vmcnt(1)
	v_pk_fma_f32 v[30:31], v[116:117], v[48:49], v[30:31] op_sel:[1,0,0]
	scratch_load_dwordx4 v[48:51], off, off offset:2016 ; 16-byte Folded Reload
	s_waitcnt vmcnt(0)
	v_pk_fma_f32 v[0:1], v[118:119], v[50:51], v[0:1] op_sel_hi:[0,1,1]
	scratch_load_dwordx4 v[48:51], off, off offset:1984 ; 16-byte Folded Reload
	s_nop 0
	scratch_store_dwordx2 off, v[0:1], off offset:1664 ; 8-byte Folded Spill
	s_waitcnt vmcnt(1)
	v_pk_fma_f32 v[0:1], v[118:119], v[50:51], v[2:3] op_sel_hi:[0,1,1]
	scratch_store_dwordx2 off, v[0:1], off offset:1672 ; 8-byte Folded Spill
	scratch_load_dwordx4 v[0:3], off, off offset:1952 ; 16-byte Folded Reload
	s_waitcnt vmcnt(0)
	v_pk_fma_f32 v[0:1], v[118:119], v[2:3], v[4:5] op_sel_hi:[0,1,1]
	scratch_store_dwordx2 off, v[0:1], off offset:1680 ; 8-byte Folded Spill
	scratch_load_dwordx4 v[0:3], off, off offset:1920 ; 16-byte Folded Reload
	;; [unrolled: 4-line block ×6, first 2 shown]
	v_fma_f32 v38, v116, v74, v77
	v_fmac_f32_e32 v38, v117, v75
	v_fmac_f32_e32 v38, v118, v76
	s_waitcnt vmcnt(0)
	v_pk_fma_f32 v[0:1], v[118:119], v[2:3], v[18:19] op_sel_hi:[0,1,1]
	scratch_store_dwordx2 off, v[0:1], off offset:1720 ; 8-byte Folded Spill
	scratch_load_dwordx4 v[0:3], off, off offset:2304 ; 16-byte Folded Reload
	s_waitcnt vmcnt(0)
	v_pk_fma_f32 v[0:1], v[118:119], v[2:3], v[20:21] op_sel_hi:[0,1,1]
	scratch_store_dwordx2 off, v[0:1], off offset:1728 ; 8-byte Folded Spill
	scratch_load_dwordx4 v[0:3], off, off offset:2360 ; 16-byte Folded Reload
	;; [unrolled: 4-line block ×5, first 2 shown]
	s_waitcnt vmcnt(0)
	v_pk_fma_f32 v[0:1], v[118:119], v[2:3], v[30:31] op_sel_hi:[0,1,1]
	scratch_store_dwordx2 off, v[0:1], off offset:1760 ; 8-byte Folded Spill
	scratch_load_dwordx2 v[0:1], off, off offset:2640 ; 8-byte Folded Reload
	s_nop 0
	scratch_load_dwordx2 v[2:3], off, off offset:2680 ; 8-byte Folded Reload
	s_waitcnt vmcnt(0)
	v_pk_fma_f32 v[0:1], v[116:117], v[0:1], v[2:3] op_sel_hi:[0,1,1]
	scratch_load_dwordx4 v[2:5], off, off offset:2648 ; 16-byte Folded Reload
	s_waitcnt vmcnt(0)
	v_pk_fma_f32 v[0:1], v[116:117], v[2:3], v[0:1] op_sel:[1,0,0]
	scratch_load_dwordx4 v[2:5], off, off offset:2616 ; 16-byte Folded Reload
	s_waitcnt vmcnt(0)
	v_pk_fma_f32 v[0:1], v[118:119], v[4:5], v[0:1] op_sel_hi:[0,1,1]
	scratch_store_dwordx2 off, v[0:1], off offset:1768 ; 8-byte Folded Spill
	scratch_load_dwordx4 v[0:3], off, off offset:2704 ; 16-byte Folded Reload
	s_waitcnt vmcnt(0)
	v_fma_f32 v39, v116, v0, v3
	v_fmac_f32_e32 v39, v117, v1
	v_fmac_f32_e32 v39, v118, v2
	scratch_load_dwordx2 v[0:1], off, off offset:2720 ; 8-byte Folded Reload
	scratch_load_dwordx2 v[2:3], off, off offset:2760 ; 8-byte Folded Reload
	s_waitcnt vmcnt(0)
	v_pk_fma_f32 v[0:1], v[116:117], v[0:1], v[2:3] op_sel_hi:[0,1,1]
	scratch_load_dwordx4 v[2:5], off, off offset:2728 ; 16-byte Folded Reload
	s_waitcnt vmcnt(0)
	v_pk_fma_f32 v[0:1], v[116:117], v[2:3], v[0:1] op_sel:[1,0,0]
	scratch_load_dwordx4 v[2:5], off, off offset:2688 ; 16-byte Folded Reload
	s_waitcnt vmcnt(0)
	v_pk_fma_f32 v[0:1], v[118:119], v[4:5], v[0:1] op_sel_hi:[0,1,1]
	scratch_store_dwordx2 off, v[0:1], off offset:1776 ; 8-byte Folded Spill
	scratch_load_dwordx4 v[0:3], off, off offset:2792 ; 16-byte Folded Reload
	s_waitcnt vmcnt(0)
	v_fma_f32 v0, v116, v0, v3
	v_fmac_f32_e32 v0, v117, v1
	v_fmac_f32_e32 v0, v118, v2
	scratch_load_dwordx2 v[2:3], off, off offset:2768 ; 8-byte Folded Reload
	scratch_load_dwordx2 v[4:5], off, off offset:2808 ; 8-byte Folded Reload
	s_waitcnt vmcnt(0)
	v_pk_fma_f32 v[2:3], v[116:117], v[2:3], v[4:5] op_sel_hi:[0,1,1]
	scratch_load_dwordx4 v[4:7], off, off offset:2776 ; 16-byte Folded Reload
	s_waitcnt vmcnt(0)
	v_pk_fma_f32 v[2:3], v[116:117], v[4:5], v[2:3] op_sel:[1,0,0]
	scratch_load_dwordx4 v[4:7], off, off offset:2744 ; 16-byte Folded Reload
	s_waitcnt vmcnt(0)
	v_pk_fma_f32 v[16:17], v[118:119], v[6:7], v[2:3] op_sel_hi:[0,1,1]
	scratch_load_dwordx4 v[2:5], off, off offset:2832 ; 16-byte Folded Reload
	s_waitcnt vmcnt(0)
	v_fma_f32 v1, v116, v2, v5
	v_fmac_f32_e32 v1, v117, v3
	v_fmac_f32_e32 v1, v118, v4
	scratch_load_dwordx2 v[2:3], off, off offset:2848 ; 8-byte Folded Reload
	scratch_load_dwordx2 v[4:5], off, off offset:2888 ; 8-byte Folded Reload
	s_waitcnt vmcnt(0)
	v_pk_fma_f32 v[2:3], v[116:117], v[2:3], v[4:5] op_sel_hi:[0,1,1]
	scratch_load_dwordx4 v[4:7], off, off offset:2856 ; 16-byte Folded Reload
	s_waitcnt vmcnt(0)
	v_pk_fma_f32 v[2:3], v[116:117], v[4:5], v[2:3] op_sel:[1,0,0]
	scratch_load_dwordx4 v[4:7], off, off offset:2816 ; 16-byte Folded Reload
	s_waitcnt vmcnt(0)
	v_pk_fma_f32 v[2:3], v[118:119], v[6:7], v[2:3] op_sel_hi:[0,1,1]
	scratch_store_dwordx2 off, v[2:3], off offset:1784 ; 8-byte Folded Spill
	scratch_load_dwordx4 v[2:5], off, off offset:2920 ; 16-byte Folded Reload
	s_waitcnt vmcnt(0)
	v_fma_f32 v32, v116, v2, v5
	v_fmac_f32_e32 v32, v117, v3
	v_fmac_f32_e32 v32, v118, v4
	scratch_load_dwordx2 v[2:3], off, off offset:2896 ; 8-byte Folded Reload
	scratch_load_dwordx2 v[4:5], off, off offset:2936 ; 8-byte Folded Reload
	s_waitcnt vmcnt(0)
	v_pk_fma_f32 v[2:3], v[116:117], v[2:3], v[4:5] op_sel_hi:[0,1,1]
	scratch_load_dwordx4 v[4:7], off, off offset:2904 ; 16-byte Folded Reload
	s_waitcnt vmcnt(0)
	v_pk_fma_f32 v[2:3], v[116:117], v[4:5], v[2:3] op_sel:[1,0,0]
	scratch_load_dwordx4 v[4:7], off, off offset:2872 ; 16-byte Folded Reload
	s_waitcnt vmcnt(0)
	v_pk_fma_f32 v[30:31], v[118:119], v[6:7], v[2:3] op_sel_hi:[0,1,1]
	scratch_load_dwordx4 v[2:5], off, off offset:2960 ; 16-byte Folded Reload
	s_waitcnt vmcnt(0)
	v_fma_f32 v33, v116, v2, v5
	v_fmac_f32_e32 v33, v117, v3
	v_fmac_f32_e32 v33, v118, v4
	scratch_load_dwordx2 v[2:3], off, off offset:2976 ; 8-byte Folded Reload
	scratch_load_dwordx2 v[4:5], off, off offset:3016 ; 8-byte Folded Reload
	s_waitcnt vmcnt(0)
	v_pk_fma_f32 v[2:3], v[116:117], v[2:3], v[4:5] op_sel_hi:[0,1,1]
	scratch_load_dwordx4 v[4:7], off, off offset:2984 ; 16-byte Folded Reload
	s_waitcnt vmcnt(0)
	v_pk_fma_f32 v[2:3], v[116:117], v[4:5], v[2:3] op_sel:[1,0,0]
	scratch_load_dwordx4 v[4:7], off, off offset:2944 ; 16-byte Folded Reload
	s_waitcnt vmcnt(0)
	v_pk_fma_f32 v[50:51], v[118:119], v[6:7], v[2:3] op_sel_hi:[0,1,1]
	;; [unrolled: 15-line block ×6, first 2 shown]
	scratch_load_dwordx4 v[2:5], off, off offset:3304 ; 16-byte Folded Reload
	s_waitcnt vmcnt(0)
	v_fma_f32 v10, v116, v2, v5
	v_fmac_f32_e32 v10, v117, v3
	v_fmac_f32_e32 v10, v118, v4
	scratch_load_dwordx2 v[2:3], off, off offset:3280 ; 8-byte Folded Reload
	scratch_load_dwordx2 v[4:5], off, off offset:3320 ; 8-byte Folded Reload
	scratch_load_dwordx4 v[18:21], off, off offset:3288 ; 16-byte Folded Reload
	s_waitcnt vmcnt(1)
	v_pk_fma_f32 v[2:3], v[116:117], v[2:3], v[4:5] op_sel_hi:[0,1,1]
	s_waitcnt vmcnt(0)
	v_pk_fma_f32 v[2:3], v[116:117], v[18:19], v[2:3] op_sel:[1,0,0]
	scratch_load_dwordx4 v[18:21], off, off offset:3256 ; 16-byte Folded Reload
	s_waitcnt vmcnt(0)
	v_pk_fma_f32 v[8:9], v[118:119], v[20:21], v[2:3] op_sel_hi:[0,1,1]
	scratch_load_dwordx4 v[2:5], off, off offset:3344 ; 16-byte Folded Reload
	s_waitcnt vmcnt(0)
	v_fma_f32 v11, v116, v2, v5
	v_fmac_f32_e32 v11, v117, v3
	v_fmac_f32_e32 v11, v118, v4
	scratch_load_dwordx2 v[2:3], off, off offset:3360 ; 8-byte Folded Reload
	scratch_load_dwordx2 v[4:5], off, off offset:3400 ; 8-byte Folded Reload
	scratch_load_dwordx4 v[18:21], off, off offset:3368 ; 16-byte Folded Reload
	s_waitcnt vmcnt(1)
	v_pk_fma_f32 v[2:3], v[116:117], v[2:3], v[4:5] op_sel_hi:[0,1,1]
	s_waitcnt vmcnt(0)
	v_pk_fma_f32 v[2:3], v[116:117], v[18:19], v[2:3] op_sel:[1,0,0]
	scratch_load_dwordx4 v[18:21], off, off offset:3328 ; 16-byte Folded Reload
	s_waitcnt vmcnt(0)
	v_pk_fma_f32 v[18:19], v[118:119], v[20:21], v[2:3] op_sel_hi:[0,1,1]
	;; [unrolled: 15-line block ×8, first 2 shown]
	scratch_load_dwordx4 v[2:5], off, off offset:3816 ; 16-byte Folded Reload
	s_waitcnt vmcnt(0)
	v_fma_f32 v2, v116, v2, v5
	v_fmac_f32_e32 v2, v117, v3
	v_fmac_f32_e32 v2, v118, v4
	scratch_load_dwordx2 v[4:5], off, off offset:3792 ; 8-byte Folded Reload
	scratch_load_dwordx2 v[72:73], off, off offset:3832 ; 8-byte Folded Reload
	v_mov_b32_e32 v3, 0x40b00000
	s_waitcnt vmcnt(0)
	v_pk_fma_f32 v[4:5], v[116:117], v[4:5], v[72:73] op_sel_hi:[0,1,1]
	scratch_load_dwordx4 v[72:75], off, off offset:3800 ; 16-byte Folded Reload
	s_waitcnt vmcnt(0)
	v_pk_fma_f32 v[4:5], v[116:117], v[72:73], v[4:5] op_sel:[1,0,0]
	scratch_load_dwordx4 v[72:75], off, off offset:3768 ; 16-byte Folded Reload
	s_waitcnt vmcnt(0)
	v_pk_fma_f32 v[72:73], v[118:119], v[74:75], v[4:5] op_sel_hi:[0,1,1]
	v_lshlrev_b64 v[4:5], 4, v[84:85]
	v_lshl_add_u64 v[4:5], s[22:23], 0, v[4:5]
	global_load_dwordx4 v[116:119], v[4:5], off
	v_mov_b32_e32 v4, 0xff7fffff
	s_waitcnt vmcnt(0)
	v_cmp_gt_f32_e64 s[8:9], 0, v118
	v_cmp_lt_f32_e64 s[2:3], 0, v118
	v_cmp_eq_u32_e64 s[4:5], s37, v116
	v_cmp_eq_u32_e64 s[6:7], s38, v116
	v_cndmask_b32_e64 v3, 1.0, v3, s[8:9]
	v_cndmask_b32_e64 v4, v4, 1.0, s[8:9]
.LBB5_28:                               ;   Parent Loop BB5_27 Depth=1
                                        ; =>  This Inner Loop Header: Depth=2
	global_load_dwordx4 v[124:127], v52, s[30:31] offset:-8
	s_waitcnt vmcnt(0)
	v_ashrrev_i32_e32 v75, 31, v127
	v_mov_b32_e32 v74, v127
	v_lshlrev_b64 v[74:75], 4, v[74:75]
	v_lshl_add_u64 v[74:75], s[22:23], 0, v[74:75]
	global_load_dwordx4 v[112:115], v[74:75], off
	s_waitcnt vmcnt(0)
	v_add_f32_e32 v82, v117, v113
	v_div_scale_f32 v5, s[0:1], v82, v82, 1.0
	v_rcp_f32_e32 v74, v5
	v_cmp_lt_f32_e64 s[0:1], 0, v114
	s_and_b64 s[0:1], s[0:1], s[8:9]
	v_cmp_neq_f32_e64 s[10:11], 0, v114
	v_fma_f32 v75, -v5, v74, 1.0
	v_fmac_f32_e32 v74, v75, v74
	v_div_scale_f32 v75, vcc, 1.0, v82, 1.0
	v_mul_f32_e32 v76, v75, v74
	v_fma_f32 v77, -v5, v76, v75
	v_fmac_f32_e32 v76, v77, v74
	v_fma_f32 v5, -v5, v76, v75
	v_div_fmas_f32 v5, v5, v74, v76
	v_cmp_eq_u32_e32 vcc, s37, v112
	v_div_fixup_f32 v80, v5, v82, 1.0
	s_and_b64 vcc, vcc, s[4:5]
	v_mov_b32_e32 v5, 0x3e800000
	v_cndmask_b32_e64 v75, 2.0, 4.0, vcc
	v_cndmask_b32_e32 v74, 0.5, v5, vcc
	v_cmp_eq_u32_e32 vcc, s38, v112
	scratch_load_dwordx2 v[112:113], off, off offset:1664 ; 8-byte Folded Reload
	s_or_b64 s[34:35], vcc, s[6:7]
	v_cmp_gt_f32_e32 vcc, 0, v114
	v_cndmask_b32_e64 v81, v118, -v118, s[0:1]
	s_and_b64 s[12:13], vcc, s[2:3]
	v_cndmask_b32_e32 v5, v4, v3, vcc
	v_div_scale_f32 v76, s[0:1], v5, v5, 1.0
	v_rcp_f32_e32 v78, v76
	v_cndmask_b32_e64 v77, v114, -v114, s[12:13]
	v_add_f32_e32 v116, v77, v81
	v_sub_f32_e32 v77, v88, v125
	v_fma_f32 v83, -v76, v78, 1.0
	v_fmac_f32_e32 v78, v83, v78
	v_div_scale_f32 v83, vcc, 1.0, v5, 1.0
	v_mul_f32_e32 v84, v83, v78
	v_fma_f32 v85, -v76, v84, v83
	v_fmac_f32_e32 v84, v85, v78
	v_fma_f32 v76, -v76, v84, v83
	v_div_fmas_f32 v76, v76, v78, v84
	v_mul_f32_e32 v78, v119, v115
	scratch_load_dwordx2 v[114:115], off, off offset:1672 ; 8-byte Folded Reload
	v_mov_b32_e32 v84, v124
	v_mov_b32_e32 v85, v126
	v_div_fixup_f32 v76, v76, v5, 1.0
	s_waitcnt vmcnt(1)
	v_pk_add_f32 v[112:113], v[112:113], v[84:85] neg_lo:[0,1] neg_hi:[0,1]
	s_nop 0
	v_pk_mul_f32 v[112:113], v[112:113], v[112:113]
	s_waitcnt vmcnt(0)
	v_pk_add_f32 v[114:115], v[114:115], v[84:85] neg_lo:[0,1] neg_hi:[0,1]
	v_fma_f32 v77, v77, v77, v112
	v_add_f32_e32 v77, v77, v113
	v_cmp_gt_f32_e32 vcc, s39, v77
	v_mul_f32_e32 v81, 0x4f800000, v77
	v_pk_mul_f32 v[114:115], v[114:115], v[114:115]
	v_cndmask_b32_e32 v77, v77, v81, vcc
	v_sqrt_f32_e32 v81, v77
	s_nop 0
	v_add_u32_e32 v83, -1, v81
	v_fma_f32 v112, -v83, v81, v77
	v_cmp_ge_f32_e64 s[0:1], 0, v112
	v_add_u32_e32 v112, 1, v81
	s_nop 0
	v_cndmask_b32_e64 v83, v81, v83, s[0:1]
	v_fma_f32 v81, -v112, v81, v77
	v_cmp_lt_f32_e64 s[0:1], 0, v81
	s_nop 1
	v_cndmask_b32_e64 v81, v83, v112, s[0:1]
	v_mul_f32_e32 v83, 0x37800000, v81
	v_cndmask_b32_e32 v81, v81, v83, vcc
	v_cmp_class_f32_e32 vcc, v77, v86
	s_nop 1
	v_cndmask_b32_e32 v112, v81, v77, vcc
	v_sub_f32_e32 v77, v89, v125
	v_fma_f32 v77, v77, v77, v114
	v_add_f32_e32 v77, v77, v115
	v_cmp_gt_f32_e32 vcc, s39, v77
	v_mul_f32_e32 v81, 0x4f800000, v77
	s_nop 0
	v_cndmask_b32_e32 v77, v77, v81, vcc
	v_sqrt_f32_e32 v81, v77
	s_nop 0
	v_add_u32_e32 v83, -1, v81
	v_fma_f32 v113, -v83, v81, v77
	v_cmp_ge_f32_e64 s[0:1], 0, v113
	v_add_u32_e32 v113, 1, v81
	s_nop 0
	v_cndmask_b32_e64 v83, v81, v83, s[0:1]
	v_fma_f32 v81, -v113, v81, v77
	v_cmp_lt_f32_e64 s[0:1], 0, v81
	s_nop 1
	v_cndmask_b32_e64 v81, v83, v113, s[0:1]
	v_mul_f32_e32 v83, 0x37800000, v81
	v_cndmask_b32_e32 v81, v81, v83, vcc
	v_cmp_class_f32_e32 vcc, v77, v86
	s_nop 1
	v_cndmask_b32_e32 v113, v81, v77, vcc
	v_pk_add_f32 v[114:115], v[112:113], v[82:83] op_sel_hi:[1,0] neg_lo:[0,1] neg_hi:[0,1]
	v_pk_fma_f32 v[112:113], v[80:81], v[112:113], 1.0 op_sel_hi:[0,1,0] neg_lo:[1,0,0] neg_hi:[1,0,0]
	v_cmp_gt_f32_e32 vcc, 0, v114
	v_cmp_gt_f32_e64 s[0:1], 0, v115
	v_cmp_lt_f32_e64 s[12:13], v114, v75
	v_cndmask_b32_e32 v126, 0, v87, vcc
	v_cndmask_b32_e64 v127, 0, v87, s[0:1]
	v_pk_fma_f32 v[58:59], v[112:113], v[126:127], v[58:59]
	v_pk_fma_f32 v[112:113], v[74:75], v[114:115], 1.0 op_sel_hi:[0,1,0] neg_lo:[1,0,0] neg_hi:[1,0,0]
	v_cmp_lt_f32_e64 s[16:17], v115, v75
	v_cndmask_b32_e64 v113, v113, 1.0, s[0:1]
	v_cndmask_b32_e64 v112, v112, 1.0, vcc
	v_cndmask_b32_e64 v127, 0, 1.0, s[16:17]
	v_cndmask_b32_e64 v126, 0, 1.0, s[12:13]
	v_pk_mul_f32 v[112:113], v[126:127], v[112:113]
	v_cmp_lt_f32_e64 s[12:13], v115, v5
	v_pk_mul_f32 v[112:113], v[78:79], v[112:113] op_sel_hi:[0,1]
	v_cmp_lt_f32_e64 s[16:17], v114, v5
	v_cndmask_b32_e64 v113, v113, -|v113|, s[34:35]
	v_cndmask_b32_e64 v112, v112, -|v112|, s[34:35]
	s_and_b64 s[16:17], s[10:11], s[16:17]
	s_and_b64 s[12:13], s[10:11], s[12:13]
	v_pk_fma_f32 v[58:59], v[112:113], s[28:29], v[58:59] op_sel_hi:[1,0,1]
	v_pk_fma_f32 v[112:113], v[76:77], v[114:115], 1.0 op_sel_hi:[0,1,0] neg_lo:[1,0,0] neg_hi:[1,0,0]
	v_cndmask_b32_e64 v115, 0, 1.0, s[12:13]
	v_cndmask_b32_e64 v114, 0, 1.0, s[16:17]
	v_pk_mul_f32 v[114:115], v[116:117], v[114:115] op_sel_hi:[0,1]
	v_cndmask_b32_e64 v113, v113, 1.0, s[0:1]
	v_cndmask_b32_e64 v112, v112, 1.0, vcc
	v_pk_fma_f32 v[58:59], v[112:113], v[114:115], v[58:59]
	scratch_load_dwordx2 v[112:113], off, off offset:1680 ; 8-byte Folded Reload
	v_sub_f32_e32 v77, v54, v125
	s_waitcnt vmcnt(0)
	v_pk_add_f32 v[112:113], v[112:113], v[84:85] neg_lo:[0,1] neg_hi:[0,1]
	s_nop 0
	v_pk_mul_f32 v[112:113], v[112:113], v[112:113]
	s_nop 0
	v_fma_f32 v77, v77, v77, v112
	v_add_f32_e32 v77, v77, v113
	v_cmp_gt_f32_e32 vcc, s39, v77
	v_mul_f32_e32 v81, 0x4f800000, v77
	s_nop 0
	v_cndmask_b32_e32 v77, v77, v81, vcc
	v_sqrt_f32_e32 v81, v77
	s_nop 0
	v_add_u32_e32 v83, -1, v81
	v_fma_f32 v112, -v83, v81, v77
	v_cmp_ge_f32_e64 s[0:1], 0, v112
	v_add_u32_e32 v112, 1, v81
	s_nop 0
	v_cndmask_b32_e64 v83, v81, v83, s[0:1]
	v_fma_f32 v81, -v112, v81, v77
	v_cmp_lt_f32_e64 s[0:1], 0, v81
	s_nop 1
	v_cndmask_b32_e64 v81, v83, v112, s[0:1]
	scratch_load_dwordx2 v[112:113], off, off offset:1688 ; 8-byte Folded Reload
	v_mul_f32_e32 v83, 0x37800000, v81
	v_cndmask_b32_e32 v81, v81, v83, vcc
	v_cmp_class_f32_e32 vcc, v77, v86
	s_waitcnt vmcnt(0)
	v_pk_add_f32 v[112:113], v[112:113], v[84:85] neg_lo:[0,1] neg_hi:[0,1]
	v_cndmask_b32_e32 v126, v81, v77, vcc
	v_sub_f32_e32 v77, v55, v125
	v_pk_mul_f32 v[112:113], v[112:113], v[112:113]
	s_nop 0
	v_fma_f32 v77, v77, v77, v112
	v_add_f32_e32 v77, v77, v113
	v_cmp_gt_f32_e32 vcc, s39, v77
	v_mul_f32_e32 v81, 0x4f800000, v77
	s_nop 0
	v_cndmask_b32_e32 v77, v77, v81, vcc
	v_sqrt_f32_e32 v81, v77
	s_nop 0
	v_add_u32_e32 v83, -1, v81
	v_fma_f32 v112, -v83, v81, v77
	v_cmp_ge_f32_e64 s[0:1], 0, v112
	v_add_u32_e32 v112, 1, v81
	s_nop 0
	v_cndmask_b32_e64 v83, v81, v83, s[0:1]
	v_fma_f32 v81, -v112, v81, v77
	v_cmp_lt_f32_e64 s[0:1], 0, v81
	s_nop 1
	v_cndmask_b32_e64 v81, v83, v112, s[0:1]
	v_mul_f32_e32 v83, 0x37800000, v81
	v_cndmask_b32_e32 v81, v81, v83, vcc
	v_cmp_class_f32_e32 vcc, v77, v86
	s_nop 1
	v_cndmask_b32_e32 v127, v81, v77, vcc
	v_pk_add_f32 v[112:113], v[126:127], v[82:83] op_sel_hi:[1,0] neg_lo:[0,1] neg_hi:[0,1]
	v_pk_fma_f32 v[114:115], v[80:81], v[126:127], 1.0 op_sel_hi:[0,1,0] neg_lo:[1,0,0] neg_hi:[1,0,0]
	v_cmp_gt_f32_e32 vcc, 0, v112
	v_cmp_gt_f32_e64 s[0:1], 0, v113
	v_cmp_lt_f32_e64 s[12:13], v112, v75
	v_cndmask_b32_e32 v126, 0, v87, vcc
	v_cndmask_b32_e64 v127, 0, v87, s[0:1]
	v_pk_fma_f32 v[60:61], v[114:115], v[126:127], v[60:61]
	v_pk_fma_f32 v[114:115], v[74:75], v[112:113], 1.0 op_sel_hi:[0,1,0] neg_lo:[1,0,0] neg_hi:[1,0,0]
	v_cmp_lt_f32_e64 s[16:17], v113, v75
	v_cndmask_b32_e64 v115, v115, 1.0, s[0:1]
	v_cndmask_b32_e64 v114, v114, 1.0, vcc
	v_cndmask_b32_e64 v127, 0, 1.0, s[16:17]
	v_cndmask_b32_e64 v126, 0, 1.0, s[12:13]
	v_pk_mul_f32 v[114:115], v[126:127], v[114:115]
	v_cmp_lt_f32_e64 s[12:13], v113, v5
	v_pk_mul_f32 v[114:115], v[78:79], v[114:115] op_sel_hi:[0,1]
	v_cmp_lt_f32_e64 s[16:17], v112, v5
	v_cndmask_b32_e64 v115, v115, -|v115|, s[34:35]
	v_cndmask_b32_e64 v114, v114, -|v114|, s[34:35]
	s_and_b64 s[16:17], s[10:11], s[16:17]
	s_and_b64 s[12:13], s[10:11], s[12:13]
	v_pk_fma_f32 v[60:61], v[114:115], s[28:29], v[60:61] op_sel_hi:[1,0,1]
	v_pk_fma_f32 v[114:115], v[76:77], v[112:113], 1.0 op_sel_hi:[0,1,0] neg_lo:[1,0,0] neg_hi:[1,0,0]
	v_cndmask_b32_e64 v113, 0, 1.0, s[12:13]
	v_cndmask_b32_e64 v112, 0, 1.0, s[16:17]
	v_pk_mul_f32 v[112:113], v[116:117], v[112:113] op_sel_hi:[0,1]
	v_cndmask_b32_e64 v115, v115, 1.0, s[0:1]
	v_cndmask_b32_e64 v114, v114, 1.0, vcc
	v_pk_fma_f32 v[60:61], v[114:115], v[112:113], v[60:61]
	scratch_load_dwordx2 v[112:113], off, off offset:1696 ; 8-byte Folded Reload
	scratch_load_dwordx2 v[114:115], off, off offset:1704 ; 8-byte Folded Reload
	v_sub_f32_e32 v77, v57, v125
	s_waitcnt vmcnt(1)
	v_pk_add_f32 v[112:113], v[112:113], v[84:85] neg_lo:[0,1] neg_hi:[0,1]
	s_nop 0
	v_pk_mul_f32 v[112:113], v[112:113], v[112:113]
	s_waitcnt vmcnt(0)
	v_pk_add_f32 v[114:115], v[114:115], v[84:85] neg_lo:[0,1] neg_hi:[0,1]
	v_fma_f32 v77, v77, v77, v112
	v_add_f32_e32 v77, v77, v113
	v_cmp_gt_f32_e32 vcc, s39, v77
	v_mul_f32_e32 v81, 0x4f800000, v77
	v_pk_mul_f32 v[114:115], v[114:115], v[114:115]
	v_cndmask_b32_e32 v77, v77, v81, vcc
	v_sqrt_f32_e32 v81, v77
	s_nop 0
	v_add_u32_e32 v83, -1, v81
	v_fma_f32 v112, -v83, v81, v77
	v_cmp_ge_f32_e64 s[0:1], 0, v112
	v_add_u32_e32 v112, 1, v81
	s_nop 0
	v_cndmask_b32_e64 v83, v81, v83, s[0:1]
	v_fma_f32 v81, -v112, v81, v77
	v_cmp_lt_f32_e64 s[0:1], 0, v81
	s_nop 1
	v_cndmask_b32_e64 v81, v83, v112, s[0:1]
	v_mul_f32_e32 v83, 0x37800000, v81
	v_cndmask_b32_e32 v81, v81, v83, vcc
	v_cmp_class_f32_e32 vcc, v77, v86
	s_nop 1
	v_cndmask_b32_e32 v112, v81, v77, vcc
	v_sub_f32_e32 v77, v53, v125
	v_fma_f32 v77, v77, v77, v114
	v_add_f32_e32 v77, v77, v115
	v_cmp_gt_f32_e32 vcc, s39, v77
	v_mul_f32_e32 v81, 0x4f800000, v77
	s_nop 0
	v_cndmask_b32_e32 v77, v77, v81, vcc
	v_sqrt_f32_e32 v81, v77
	s_nop 0
	v_add_u32_e32 v83, -1, v81
	v_fma_f32 v113, -v83, v81, v77
	v_cmp_ge_f32_e64 s[0:1], 0, v113
	v_add_u32_e32 v113, 1, v81
	s_nop 0
	v_cndmask_b32_e64 v83, v81, v83, s[0:1]
	v_fma_f32 v81, -v113, v81, v77
	v_cmp_lt_f32_e64 s[0:1], 0, v81
	s_nop 1
	v_cndmask_b32_e64 v81, v83, v113, s[0:1]
	v_mul_f32_e32 v83, 0x37800000, v81
	v_cndmask_b32_e32 v81, v81, v83, vcc
	v_cmp_class_f32_e32 vcc, v77, v86
	s_nop 1
	v_cndmask_b32_e32 v113, v81, v77, vcc
	v_pk_add_f32 v[114:115], v[112:113], v[82:83] op_sel_hi:[1,0] neg_lo:[0,1] neg_hi:[0,1]
	v_pk_fma_f32 v[112:113], v[80:81], v[112:113], 1.0 op_sel_hi:[0,1,0] neg_lo:[1,0,0] neg_hi:[1,0,0]
	v_cmp_gt_f32_e32 vcc, 0, v114
	v_cmp_gt_f32_e64 s[0:1], 0, v115
	v_cmp_lt_f32_e64 s[12:13], v114, v75
	v_cndmask_b32_e32 v126, 0, v87, vcc
	v_cndmask_b32_e64 v127, 0, v87, s[0:1]
	v_pk_fma_f32 v[40:41], v[112:113], v[126:127], v[40:41]
	v_pk_fma_f32 v[112:113], v[74:75], v[114:115], 1.0 op_sel_hi:[0,1,0] neg_lo:[1,0,0] neg_hi:[1,0,0]
	v_cmp_lt_f32_e64 s[16:17], v115, v75
	v_cndmask_b32_e64 v113, v113, 1.0, s[0:1]
	v_cndmask_b32_e64 v112, v112, 1.0, vcc
	v_cndmask_b32_e64 v127, 0, 1.0, s[16:17]
	v_cndmask_b32_e64 v126, 0, 1.0, s[12:13]
	v_pk_mul_f32 v[112:113], v[126:127], v[112:113]
	v_cmp_lt_f32_e64 s[12:13], v115, v5
	v_pk_mul_f32 v[112:113], v[78:79], v[112:113] op_sel_hi:[0,1]
	v_cmp_lt_f32_e64 s[16:17], v114, v5
	v_cndmask_b32_e64 v113, v113, -|v113|, s[34:35]
	v_cndmask_b32_e64 v112, v112, -|v112|, s[34:35]
	s_and_b64 s[16:17], s[10:11], s[16:17]
	s_and_b64 s[12:13], s[10:11], s[12:13]
	v_pk_fma_f32 v[40:41], v[112:113], s[28:29], v[40:41] op_sel_hi:[1,0,1]
	v_pk_fma_f32 v[112:113], v[76:77], v[114:115], 1.0 op_sel_hi:[0,1,0] neg_lo:[1,0,0] neg_hi:[1,0,0]
	v_cndmask_b32_e64 v115, 0, 1.0, s[12:13]
	v_cndmask_b32_e64 v114, 0, 1.0, s[16:17]
	v_pk_mul_f32 v[114:115], v[116:117], v[114:115] op_sel_hi:[0,1]
	v_cndmask_b32_e64 v113, v113, 1.0, s[0:1]
	v_cndmask_b32_e64 v112, v112, 1.0, vcc
	v_pk_fma_f32 v[40:41], v[112:113], v[114:115], v[40:41]
	scratch_load_dwordx2 v[112:113], off, off offset:1712 ; 8-byte Folded Reload
	v_sub_f32_e32 v77, v62, v125
	s_waitcnt vmcnt(0)
	v_pk_add_f32 v[112:113], v[112:113], v[84:85] neg_lo:[0,1] neg_hi:[0,1]
	s_nop 0
	v_pk_mul_f32 v[112:113], v[112:113], v[112:113]
	s_nop 0
	v_fma_f32 v77, v77, v77, v112
	v_add_f32_e32 v77, v77, v113
	v_cmp_gt_f32_e32 vcc, s39, v77
	v_mul_f32_e32 v81, 0x4f800000, v77
	s_nop 0
	v_cndmask_b32_e32 v77, v77, v81, vcc
	v_sqrt_f32_e32 v81, v77
	s_nop 0
	v_add_u32_e32 v83, -1, v81
	v_fma_f32 v112, -v83, v81, v77
	v_cmp_ge_f32_e64 s[0:1], 0, v112
	v_add_u32_e32 v112, 1, v81
	s_nop 0
	v_cndmask_b32_e64 v83, v81, v83, s[0:1]
	v_fma_f32 v81, -v112, v81, v77
	v_cmp_lt_f32_e64 s[0:1], 0, v81
	s_nop 1
	v_cndmask_b32_e64 v81, v83, v112, s[0:1]
	scratch_load_dwordx2 v[112:113], off, off offset:1720 ; 8-byte Folded Reload
	v_mul_f32_e32 v83, 0x37800000, v81
	v_cndmask_b32_e32 v81, v81, v83, vcc
	v_cmp_class_f32_e32 vcc, v77, v86
	s_waitcnt vmcnt(0)
	v_pk_add_f32 v[112:113], v[112:113], v[84:85] neg_lo:[0,1] neg_hi:[0,1]
	v_cndmask_b32_e32 v126, v81, v77, vcc
	v_sub_f32_e32 v77, v63, v125
	v_pk_mul_f32 v[112:113], v[112:113], v[112:113]
	s_nop 0
	v_fma_f32 v77, v77, v77, v112
	v_add_f32_e32 v77, v77, v113
	v_cmp_gt_f32_e32 vcc, s39, v77
	v_mul_f32_e32 v81, 0x4f800000, v77
	s_nop 0
	v_cndmask_b32_e32 v77, v77, v81, vcc
	v_sqrt_f32_e32 v81, v77
	s_nop 0
	v_add_u32_e32 v83, -1, v81
	v_fma_f32 v112, -v83, v81, v77
	v_cmp_ge_f32_e64 s[0:1], 0, v112
	v_add_u32_e32 v112, 1, v81
	s_nop 0
	v_cndmask_b32_e64 v83, v81, v83, s[0:1]
	v_fma_f32 v81, -v112, v81, v77
	v_cmp_lt_f32_e64 s[0:1], 0, v81
	s_nop 1
	v_cndmask_b32_e64 v81, v83, v112, s[0:1]
	v_mul_f32_e32 v83, 0x37800000, v81
	v_cndmask_b32_e32 v81, v81, v83, vcc
	v_cmp_class_f32_e32 vcc, v77, v86
	s_nop 1
	v_cndmask_b32_e32 v127, v81, v77, vcc
	v_pk_add_f32 v[112:113], v[126:127], v[82:83] op_sel_hi:[1,0] neg_lo:[0,1] neg_hi:[0,1]
	v_pk_fma_f32 v[114:115], v[80:81], v[126:127], 1.0 op_sel_hi:[0,1,0] neg_lo:[1,0,0] neg_hi:[1,0,0]
	v_cmp_gt_f32_e32 vcc, 0, v112
	v_cmp_gt_f32_e64 s[0:1], 0, v113
	v_cmp_lt_f32_e64 s[12:13], v112, v75
	v_cndmask_b32_e32 v126, 0, v87, vcc
	v_cndmask_b32_e64 v127, 0, v87, s[0:1]
	v_pk_fma_f32 v[42:43], v[114:115], v[126:127], v[42:43]
	v_pk_fma_f32 v[114:115], v[74:75], v[112:113], 1.0 op_sel_hi:[0,1,0] neg_lo:[1,0,0] neg_hi:[1,0,0]
	v_cmp_lt_f32_e64 s[16:17], v113, v75
	v_cndmask_b32_e64 v115, v115, 1.0, s[0:1]
	v_cndmask_b32_e64 v114, v114, 1.0, vcc
	v_cndmask_b32_e64 v127, 0, 1.0, s[16:17]
	v_cndmask_b32_e64 v126, 0, 1.0, s[12:13]
	v_pk_mul_f32 v[114:115], v[126:127], v[114:115]
	v_cmp_lt_f32_e64 s[12:13], v113, v5
	v_pk_mul_f32 v[114:115], v[78:79], v[114:115] op_sel_hi:[0,1]
	v_cmp_lt_f32_e64 s[16:17], v112, v5
	v_cndmask_b32_e64 v115, v115, -|v115|, s[34:35]
	v_cndmask_b32_e64 v114, v114, -|v114|, s[34:35]
	s_and_b64 s[16:17], s[10:11], s[16:17]
	s_and_b64 s[12:13], s[10:11], s[12:13]
	v_pk_fma_f32 v[42:43], v[114:115], s[28:29], v[42:43] op_sel_hi:[1,0,1]
	v_pk_fma_f32 v[114:115], v[76:77], v[112:113], 1.0 op_sel_hi:[0,1,0] neg_lo:[1,0,0] neg_hi:[1,0,0]
	v_cndmask_b32_e64 v113, 0, 1.0, s[12:13]
	v_cndmask_b32_e64 v112, 0, 1.0, s[16:17]
	v_pk_mul_f32 v[112:113], v[116:117], v[112:113] op_sel_hi:[0,1]
	v_cndmask_b32_e64 v115, v115, 1.0, s[0:1]
	v_cndmask_b32_e64 v114, v114, 1.0, vcc
	v_pk_fma_f32 v[42:43], v[114:115], v[112:113], v[42:43]
	scratch_load_dwordx2 v[112:113], off, off offset:1728 ; 8-byte Folded Reload
	scratch_load_dwordx2 v[114:115], off, off offset:1736 ; 8-byte Folded Reload
	v_sub_f32_e32 v77, v65, v125
	s_waitcnt vmcnt(1)
	v_pk_add_f32 v[112:113], v[112:113], v[84:85] neg_lo:[0,1] neg_hi:[0,1]
	s_nop 0
	v_pk_mul_f32 v[112:113], v[112:113], v[112:113]
	s_waitcnt vmcnt(0)
	v_pk_add_f32 v[114:115], v[114:115], v[84:85] neg_lo:[0,1] neg_hi:[0,1]
	v_fma_f32 v77, v77, v77, v112
	v_add_f32_e32 v77, v77, v113
	v_cmp_gt_f32_e32 vcc, s39, v77
	v_mul_f32_e32 v81, 0x4f800000, v77
	v_pk_mul_f32 v[114:115], v[114:115], v[114:115]
	v_cndmask_b32_e32 v77, v77, v81, vcc
	v_sqrt_f32_e32 v81, v77
	s_nop 0
	v_add_u32_e32 v83, -1, v81
	v_fma_f32 v112, -v83, v81, v77
	v_cmp_ge_f32_e64 s[0:1], 0, v112
	v_add_u32_e32 v112, 1, v81
	s_nop 0
	v_cndmask_b32_e64 v83, v81, v83, s[0:1]
	v_fma_f32 v81, -v112, v81, v77
	v_cmp_lt_f32_e64 s[0:1], 0, v81
	s_nop 1
	v_cndmask_b32_e64 v81, v83, v112, s[0:1]
	v_mul_f32_e32 v83, 0x37800000, v81
	v_cndmask_b32_e32 v81, v81, v83, vcc
	v_cmp_class_f32_e32 vcc, v77, v86
	s_nop 1
	v_cndmask_b32_e32 v112, v81, v77, vcc
	v_sub_f32_e32 v77, v120, v125
	v_fma_f32 v77, v77, v77, v114
	v_add_f32_e32 v77, v77, v115
	v_cmp_gt_f32_e32 vcc, s39, v77
	v_mul_f32_e32 v81, 0x4f800000, v77
	s_nop 0
	v_cndmask_b32_e32 v77, v77, v81, vcc
	v_sqrt_f32_e32 v81, v77
	s_nop 0
	v_add_u32_e32 v83, -1, v81
	v_fma_f32 v113, -v83, v81, v77
	v_cmp_ge_f32_e64 s[0:1], 0, v113
	v_add_u32_e32 v113, 1, v81
	s_nop 0
	v_cndmask_b32_e64 v83, v81, v83, s[0:1]
	v_fma_f32 v81, -v113, v81, v77
	v_cmp_lt_f32_e64 s[0:1], 0, v81
	s_nop 1
	v_cndmask_b32_e64 v81, v83, v113, s[0:1]
	v_mul_f32_e32 v83, 0x37800000, v81
	v_cndmask_b32_e32 v81, v81, v83, vcc
	v_cmp_class_f32_e32 vcc, v77, v86
	s_nop 1
	v_cndmask_b32_e32 v113, v81, v77, vcc
	v_pk_add_f32 v[114:115], v[112:113], v[82:83] op_sel_hi:[1,0] neg_lo:[0,1] neg_hi:[0,1]
	v_pk_fma_f32 v[112:113], v[80:81], v[112:113], 1.0 op_sel_hi:[0,1,0] neg_lo:[1,0,0] neg_hi:[1,0,0]
	v_cmp_gt_f32_e32 vcc, 0, v114
	v_cmp_gt_f32_e64 s[0:1], 0, v115
	v_cmp_lt_f32_e64 s[12:13], v114, v75
	v_cndmask_b32_e32 v126, 0, v87, vcc
	v_cndmask_b32_e64 v127, 0, v87, s[0:1]
	v_pk_fma_f32 v[34:35], v[112:113], v[126:127], v[34:35]
	v_pk_fma_f32 v[112:113], v[74:75], v[114:115], 1.0 op_sel_hi:[0,1,0] neg_lo:[1,0,0] neg_hi:[1,0,0]
	v_cmp_lt_f32_e64 s[16:17], v115, v75
	v_cndmask_b32_e64 v113, v113, 1.0, s[0:1]
	v_cndmask_b32_e64 v112, v112, 1.0, vcc
	v_cndmask_b32_e64 v127, 0, 1.0, s[16:17]
	v_cndmask_b32_e64 v126, 0, 1.0, s[12:13]
	v_pk_mul_f32 v[112:113], v[126:127], v[112:113]
	v_cmp_lt_f32_e64 s[12:13], v115, v5
	v_pk_mul_f32 v[112:113], v[78:79], v[112:113] op_sel_hi:[0,1]
	v_cmp_lt_f32_e64 s[16:17], v114, v5
	v_cndmask_b32_e64 v113, v113, -|v113|, s[34:35]
	v_cndmask_b32_e64 v112, v112, -|v112|, s[34:35]
	s_and_b64 s[16:17], s[10:11], s[16:17]
	s_and_b64 s[12:13], s[10:11], s[12:13]
	v_pk_fma_f32 v[34:35], v[112:113], s[28:29], v[34:35] op_sel_hi:[1,0,1]
	v_pk_fma_f32 v[112:113], v[76:77], v[114:115], 1.0 op_sel_hi:[0,1,0] neg_lo:[1,0,0] neg_hi:[1,0,0]
	v_cndmask_b32_e64 v115, 0, 1.0, s[12:13]
	v_cndmask_b32_e64 v114, 0, 1.0, s[16:17]
	v_pk_mul_f32 v[114:115], v[116:117], v[114:115] op_sel_hi:[0,1]
	v_cndmask_b32_e64 v113, v113, 1.0, s[0:1]
	v_cndmask_b32_e64 v112, v112, 1.0, vcc
	v_pk_fma_f32 v[34:35], v[112:113], v[114:115], v[34:35]
	scratch_load_dwordx2 v[112:113], off, off offset:1744 ; 8-byte Folded Reload
	v_sub_f32_e32 v77, v79, v125
	s_waitcnt vmcnt(0)
	v_pk_add_f32 v[112:113], v[112:113], v[84:85] neg_lo:[0,1] neg_hi:[0,1]
	s_nop 0
	v_pk_mul_f32 v[112:113], v[112:113], v[112:113]
	s_nop 0
	v_fma_f32 v77, v77, v77, v112
	v_add_f32_e32 v77, v77, v113
	v_cmp_gt_f32_e32 vcc, s39, v77
	v_mul_f32_e32 v81, 0x4f800000, v77
	s_nop 0
	v_cndmask_b32_e32 v77, v77, v81, vcc
	v_sqrt_f32_e32 v81, v77
	s_nop 0
	v_add_u32_e32 v83, -1, v81
	v_fma_f32 v112, -v83, v81, v77
	v_cmp_ge_f32_e64 s[0:1], 0, v112
	v_add_u32_e32 v112, 1, v81
	s_nop 0
	v_cndmask_b32_e64 v83, v81, v83, s[0:1]
	v_fma_f32 v81, -v112, v81, v77
	v_cmp_lt_f32_e64 s[0:1], 0, v81
	s_nop 1
	v_cndmask_b32_e64 v81, v83, v112, s[0:1]
	scratch_load_dwordx2 v[112:113], off, off offset:1752 ; 8-byte Folded Reload
	v_mul_f32_e32 v83, 0x37800000, v81
	v_cndmask_b32_e32 v81, v81, v83, vcc
	v_cmp_class_f32_e32 vcc, v77, v86
	s_waitcnt vmcnt(0)
	v_pk_add_f32 v[112:113], v[112:113], v[84:85] neg_lo:[0,1] neg_hi:[0,1]
	v_cndmask_b32_e32 v126, v81, v77, vcc
	v_sub_f32_e32 v77, v22, v125
	v_pk_mul_f32 v[112:113], v[112:113], v[112:113]
	s_nop 0
	v_fma_f32 v77, v77, v77, v112
	v_add_f32_e32 v77, v77, v113
	v_cmp_gt_f32_e32 vcc, s39, v77
	v_mul_f32_e32 v81, 0x4f800000, v77
	s_nop 0
	v_cndmask_b32_e32 v77, v77, v81, vcc
	v_sqrt_f32_e32 v81, v77
	s_nop 0
	v_add_u32_e32 v83, -1, v81
	v_fma_f32 v112, -v83, v81, v77
	v_cmp_ge_f32_e64 s[0:1], 0, v112
	v_add_u32_e32 v112, 1, v81
	s_nop 0
	v_cndmask_b32_e64 v83, v81, v83, s[0:1]
	v_fma_f32 v81, -v112, v81, v77
	v_cmp_lt_f32_e64 s[0:1], 0, v81
	s_nop 1
	v_cndmask_b32_e64 v81, v83, v112, s[0:1]
	v_mul_f32_e32 v83, 0x37800000, v81
	v_cndmask_b32_e32 v81, v81, v83, vcc
	v_cmp_class_f32_e32 vcc, v77, v86
	s_nop 1
	v_cndmask_b32_e32 v127, v81, v77, vcc
	v_pk_add_f32 v[112:113], v[126:127], v[82:83] op_sel_hi:[1,0] neg_lo:[0,1] neg_hi:[0,1]
	v_pk_fma_f32 v[114:115], v[80:81], v[126:127], 1.0 op_sel_hi:[0,1,0] neg_lo:[1,0,0] neg_hi:[1,0,0]
	v_cmp_gt_f32_e32 vcc, 0, v112
	v_cmp_gt_f32_e64 s[0:1], 0, v113
	v_cmp_lt_f32_e64 s[12:13], v112, v75
	v_cndmask_b32_e32 v126, 0, v87, vcc
	v_cndmask_b32_e64 v127, 0, v87, s[0:1]
	v_pk_fma_f32 v[36:37], v[114:115], v[126:127], v[36:37]
	v_pk_fma_f32 v[114:115], v[74:75], v[112:113], 1.0 op_sel_hi:[0,1,0] neg_lo:[1,0,0] neg_hi:[1,0,0]
	v_cmp_lt_f32_e64 s[16:17], v113, v75
	v_cndmask_b32_e64 v115, v115, 1.0, s[0:1]
	v_cndmask_b32_e64 v114, v114, 1.0, vcc
	v_cndmask_b32_e64 v127, 0, 1.0, s[16:17]
	v_cndmask_b32_e64 v126, 0, 1.0, s[12:13]
	v_pk_mul_f32 v[114:115], v[126:127], v[114:115]
	v_cmp_lt_f32_e64 s[12:13], v113, v5
	v_pk_mul_f32 v[114:115], v[78:79], v[114:115] op_sel_hi:[0,1]
	v_cmp_lt_f32_e64 s[16:17], v112, v5
	v_cndmask_b32_e64 v115, v115, -|v115|, s[34:35]
	v_cndmask_b32_e64 v114, v114, -|v114|, s[34:35]
	s_and_b64 s[16:17], s[10:11], s[16:17]
	s_and_b64 s[12:13], s[10:11], s[12:13]
	v_pk_fma_f32 v[36:37], v[114:115], s[28:29], v[36:37] op_sel_hi:[1,0,1]
	v_pk_fma_f32 v[114:115], v[76:77], v[112:113], 1.0 op_sel_hi:[0,1,0] neg_lo:[1,0,0] neg_hi:[1,0,0]
	v_cndmask_b32_e64 v113, 0, 1.0, s[12:13]
	v_cndmask_b32_e64 v112, 0, 1.0, s[16:17]
	v_pk_mul_f32 v[112:113], v[116:117], v[112:113] op_sel_hi:[0,1]
	v_cndmask_b32_e64 v115, v115, 1.0, s[0:1]
	v_cndmask_b32_e64 v114, v114, 1.0, vcc
	v_pk_fma_f32 v[36:37], v[114:115], v[112:113], v[36:37]
	scratch_load_dwordx2 v[112:113], off, off offset:1760 ; 8-byte Folded Reload
	scratch_load_dwordx2 v[114:115], off, off offset:1768 ; 8-byte Folded Reload
	v_sub_f32_e32 v77, v23, v125
	s_waitcnt vmcnt(1)
	v_pk_add_f32 v[112:113], v[112:113], v[84:85] neg_lo:[0,1] neg_hi:[0,1]
	s_nop 0
	v_pk_mul_f32 v[112:113], v[112:113], v[112:113]
	s_waitcnt vmcnt(0)
	v_pk_add_f32 v[114:115], v[114:115], v[84:85] neg_lo:[0,1] neg_hi:[0,1]
	v_fma_f32 v77, v77, v77, v112
	v_add_f32_e32 v77, v77, v113
	v_cmp_gt_f32_e32 vcc, s39, v77
	v_mul_f32_e32 v81, 0x4f800000, v77
	v_pk_mul_f32 v[114:115], v[114:115], v[114:115]
	v_cndmask_b32_e32 v77, v77, v81, vcc
	v_sqrt_f32_e32 v81, v77
	s_nop 0
	v_add_u32_e32 v83, -1, v81
	v_fma_f32 v112, -v83, v81, v77
	v_cmp_ge_f32_e64 s[0:1], 0, v112
	v_add_u32_e32 v112, 1, v81
	s_nop 0
	v_cndmask_b32_e64 v83, v81, v83, s[0:1]
	v_fma_f32 v81, -v112, v81, v77
	v_cmp_lt_f32_e64 s[0:1], 0, v81
	s_nop 1
	v_cndmask_b32_e64 v81, v83, v112, s[0:1]
	v_mul_f32_e32 v83, 0x37800000, v81
	v_cndmask_b32_e32 v81, v81, v83, vcc
	v_cmp_class_f32_e32 vcc, v77, v86
	s_nop 1
	v_cndmask_b32_e32 v112, v81, v77, vcc
	v_sub_f32_e32 v77, v38, v125
	v_fma_f32 v77, v77, v77, v114
	v_add_f32_e32 v77, v77, v115
	v_cmp_gt_f32_e32 vcc, s39, v77
	v_mul_f32_e32 v81, 0x4f800000, v77
	s_nop 0
	v_cndmask_b32_e32 v77, v77, v81, vcc
	v_sqrt_f32_e32 v81, v77
	s_nop 0
	v_add_u32_e32 v83, -1, v81
	v_fma_f32 v113, -v83, v81, v77
	v_cmp_ge_f32_e64 s[0:1], 0, v113
	v_add_u32_e32 v113, 1, v81
	s_nop 0
	v_cndmask_b32_e64 v83, v81, v83, s[0:1]
	v_fma_f32 v81, -v113, v81, v77
	v_cmp_lt_f32_e64 s[0:1], 0, v81
	s_nop 1
	v_cndmask_b32_e64 v81, v83, v113, s[0:1]
	v_mul_f32_e32 v83, 0x37800000, v81
	v_cndmask_b32_e32 v81, v81, v83, vcc
	v_cmp_class_f32_e32 vcc, v77, v86
	s_nop 1
	v_cndmask_b32_e32 v113, v81, v77, vcc
	v_pk_add_f32 v[114:115], v[112:113], v[82:83] op_sel_hi:[1,0] neg_lo:[0,1] neg_hi:[0,1]
	v_pk_fma_f32 v[112:113], v[80:81], v[112:113], 1.0 op_sel_hi:[0,1,0] neg_lo:[1,0,0] neg_hi:[1,0,0]
	v_cmp_gt_f32_e32 vcc, 0, v114
	v_cmp_gt_f32_e64 s[0:1], 0, v115
	v_cmp_lt_f32_e64 s[12:13], v114, v75
	v_cndmask_b32_e32 v126, 0, v87, vcc
	v_cndmask_b32_e64 v127, 0, v87, s[0:1]
	v_pk_fma_f32 v[108:109], v[112:113], v[126:127], v[108:109]
	v_pk_fma_f32 v[112:113], v[74:75], v[114:115], 1.0 op_sel_hi:[0,1,0] neg_lo:[1,0,0] neg_hi:[1,0,0]
	v_cmp_lt_f32_e64 s[16:17], v115, v75
	v_cndmask_b32_e64 v113, v113, 1.0, s[0:1]
	v_cndmask_b32_e64 v112, v112, 1.0, vcc
	v_cndmask_b32_e64 v127, 0, 1.0, s[16:17]
	v_cndmask_b32_e64 v126, 0, 1.0, s[12:13]
	v_pk_mul_f32 v[112:113], v[126:127], v[112:113]
	v_cmp_lt_f32_e64 s[12:13], v115, v5
	v_pk_mul_f32 v[112:113], v[78:79], v[112:113] op_sel_hi:[0,1]
	v_cmp_lt_f32_e64 s[16:17], v114, v5
	v_cndmask_b32_e64 v113, v113, -|v113|, s[34:35]
	v_cndmask_b32_e64 v112, v112, -|v112|, s[34:35]
	s_and_b64 s[16:17], s[10:11], s[16:17]
	s_and_b64 s[12:13], s[10:11], s[12:13]
	v_pk_fma_f32 v[108:109], v[112:113], s[28:29], v[108:109] op_sel_hi:[1,0,1]
	v_pk_fma_f32 v[112:113], v[76:77], v[114:115], 1.0 op_sel_hi:[0,1,0] neg_lo:[1,0,0] neg_hi:[1,0,0]
	v_cndmask_b32_e64 v115, 0, 1.0, s[12:13]
	v_cndmask_b32_e64 v114, 0, 1.0, s[16:17]
	v_pk_mul_f32 v[114:115], v[116:117], v[114:115] op_sel_hi:[0,1]
	v_cndmask_b32_e64 v113, v113, 1.0, s[0:1]
	v_cndmask_b32_e64 v112, v112, 1.0, vcc
	v_pk_fma_f32 v[108:109], v[112:113], v[114:115], v[108:109]
	scratch_load_dwordx2 v[112:113], off, off offset:1776 ; 8-byte Folded Reload
	v_sub_f32_e32 v77, v39, v125
	s_waitcnt vmcnt(0)
	v_pk_add_f32 v[112:113], v[112:113], v[84:85] neg_lo:[0,1] neg_hi:[0,1]
	s_nop 0
	v_pk_mul_f32 v[112:113], v[112:113], v[112:113]
	s_nop 0
	v_fma_f32 v77, v77, v77, v112
	v_add_f32_e32 v77, v77, v113
	v_cmp_gt_f32_e32 vcc, s39, v77
	v_mul_f32_e32 v81, 0x4f800000, v77
	s_nop 0
	v_cndmask_b32_e32 v77, v77, v81, vcc
	v_sqrt_f32_e32 v81, v77
	s_nop 0
	v_add_u32_e32 v83, -1, v81
	v_fma_f32 v112, -v83, v81, v77
	v_cmp_ge_f32_e64 s[0:1], 0, v112
	v_add_u32_e32 v112, 1, v81
	s_nop 0
	v_cndmask_b32_e64 v83, v81, v83, s[0:1]
	v_fma_f32 v81, -v112, v81, v77
	v_cmp_lt_f32_e64 s[0:1], 0, v81
	s_nop 1
	v_cndmask_b32_e64 v81, v83, v112, s[0:1]
	v_mul_f32_e32 v83, 0x37800000, v81
	v_cndmask_b32_e32 v81, v81, v83, vcc
	v_cmp_class_f32_e32 vcc, v77, v86
	v_pk_add_f32 v[112:113], v[16:17], v[84:85] neg_lo:[0,1] neg_hi:[0,1]
	s_nop 0
	v_cndmask_b32_e32 v126, v81, v77, vcc
	v_sub_f32_e32 v77, v0, v125
	v_pk_mul_f32 v[112:113], v[112:113], v[112:113]
	s_nop 0
	v_fma_f32 v77, v77, v77, v112
	v_add_f32_e32 v77, v77, v113
	v_cmp_gt_f32_e32 vcc, s39, v77
	v_mul_f32_e32 v81, 0x4f800000, v77
	s_nop 0
	v_cndmask_b32_e32 v77, v77, v81, vcc
	v_sqrt_f32_e32 v81, v77
	s_nop 0
	v_add_u32_e32 v83, -1, v81
	v_fma_f32 v112, -v83, v81, v77
	v_cmp_ge_f32_e64 s[0:1], 0, v112
	v_add_u32_e32 v112, 1, v81
	s_nop 0
	v_cndmask_b32_e64 v83, v81, v83, s[0:1]
	v_fma_f32 v81, -v112, v81, v77
	v_cmp_lt_f32_e64 s[0:1], 0, v81
	s_nop 1
	v_cndmask_b32_e64 v81, v83, v112, s[0:1]
	v_mul_f32_e32 v83, 0x37800000, v81
	v_cndmask_b32_e32 v81, v81, v83, vcc
	v_cmp_class_f32_e32 vcc, v77, v86
	s_nop 1
	v_cndmask_b32_e32 v127, v81, v77, vcc
	v_pk_add_f32 v[112:113], v[126:127], v[82:83] op_sel_hi:[1,0] neg_lo:[0,1] neg_hi:[0,1]
	v_pk_fma_f32 v[114:115], v[80:81], v[126:127], 1.0 op_sel_hi:[0,1,0] neg_lo:[1,0,0] neg_hi:[1,0,0]
	v_cmp_gt_f32_e32 vcc, 0, v112
	v_cmp_gt_f32_e64 s[0:1], 0, v113
	v_cmp_lt_f32_e64 s[12:13], v112, v75
	v_cndmask_b32_e32 v126, 0, v87, vcc
	v_cndmask_b32_e64 v127, 0, v87, s[0:1]
	v_pk_fma_f32 v[110:111], v[114:115], v[126:127], v[110:111]
	v_pk_fma_f32 v[114:115], v[74:75], v[112:113], 1.0 op_sel_hi:[0,1,0] neg_lo:[1,0,0] neg_hi:[1,0,0]
	v_cmp_lt_f32_e64 s[16:17], v113, v75
	v_cndmask_b32_e64 v115, v115, 1.0, s[0:1]
	v_cndmask_b32_e64 v114, v114, 1.0, vcc
	v_cndmask_b32_e64 v127, 0, 1.0, s[16:17]
	v_cndmask_b32_e64 v126, 0, 1.0, s[12:13]
	v_pk_mul_f32 v[114:115], v[126:127], v[114:115]
	v_cmp_lt_f32_e64 s[12:13], v113, v5
	v_pk_mul_f32 v[114:115], v[78:79], v[114:115] op_sel_hi:[0,1]
	v_cmp_lt_f32_e64 s[16:17], v112, v5
	v_cndmask_b32_e64 v115, v115, -|v115|, s[34:35]
	v_cndmask_b32_e64 v114, v114, -|v114|, s[34:35]
	s_and_b64 s[16:17], s[10:11], s[16:17]
	s_and_b64 s[12:13], s[10:11], s[12:13]
	v_pk_fma_f32 v[110:111], v[114:115], s[28:29], v[110:111] op_sel_hi:[1,0,1]
	v_pk_fma_f32 v[114:115], v[76:77], v[112:113], 1.0 op_sel_hi:[0,1,0] neg_lo:[1,0,0] neg_hi:[1,0,0]
	v_cndmask_b32_e64 v113, 0, 1.0, s[12:13]
	v_cndmask_b32_e64 v112, 0, 1.0, s[16:17]
	v_pk_mul_f32 v[112:113], v[116:117], v[112:113] op_sel_hi:[0,1]
	v_cndmask_b32_e64 v115, v115, 1.0, s[0:1]
	v_cndmask_b32_e64 v114, v114, 1.0, vcc
	v_pk_fma_f32 v[110:111], v[114:115], v[112:113], v[110:111]
	scratch_load_dwordx2 v[112:113], off, off offset:1784 ; 8-byte Folded Reload
	v_sub_f32_e32 v77, v1, v125
	v_pk_add_f32 v[114:115], v[30:31], v[84:85] neg_lo:[0,1] neg_hi:[0,1]
	s_waitcnt vmcnt(0)
	v_pk_add_f32 v[112:113], v[112:113], v[84:85] neg_lo:[0,1] neg_hi:[0,1]
	s_nop 0
	v_pk_mul_f32 v[112:113], v[112:113], v[112:113]
	v_pk_mul_f32 v[114:115], v[114:115], v[114:115]
	v_fma_f32 v77, v77, v77, v112
	v_add_f32_e32 v77, v77, v113
	v_cmp_gt_f32_e32 vcc, s39, v77
	v_mul_f32_e32 v81, 0x4f800000, v77
	s_nop 0
	v_cndmask_b32_e32 v77, v77, v81, vcc
	v_sqrt_f32_e32 v81, v77
	s_nop 0
	v_add_u32_e32 v83, -1, v81
	v_fma_f32 v112, -v83, v81, v77
	v_cmp_ge_f32_e64 s[0:1], 0, v112
	v_add_u32_e32 v112, 1, v81
	s_nop 0
	v_cndmask_b32_e64 v83, v81, v83, s[0:1]
	v_fma_f32 v81, -v112, v81, v77
	v_cmp_lt_f32_e64 s[0:1], 0, v81
	s_nop 1
	v_cndmask_b32_e64 v81, v83, v112, s[0:1]
	v_mul_f32_e32 v83, 0x37800000, v81
	v_cndmask_b32_e32 v81, v81, v83, vcc
	v_cmp_class_f32_e32 vcc, v77, v86
	s_nop 1
	v_cndmask_b32_e32 v112, v81, v77, vcc
	v_sub_f32_e32 v77, v32, v125
	v_fma_f32 v77, v77, v77, v114
	v_add_f32_e32 v77, v77, v115
	v_cmp_gt_f32_e32 vcc, s39, v77
	v_mul_f32_e32 v81, 0x4f800000, v77
	s_nop 0
	v_cndmask_b32_e32 v77, v77, v81, vcc
	v_sqrt_f32_e32 v81, v77
	s_nop 0
	v_add_u32_e32 v83, -1, v81
	v_fma_f32 v113, -v83, v81, v77
	v_cmp_ge_f32_e64 s[0:1], 0, v113
	v_add_u32_e32 v113, 1, v81
	s_nop 0
	v_cndmask_b32_e64 v83, v81, v83, s[0:1]
	v_fma_f32 v81, -v113, v81, v77
	v_cmp_lt_f32_e64 s[0:1], 0, v81
	s_nop 1
	v_cndmask_b32_e64 v81, v83, v113, s[0:1]
	v_mul_f32_e32 v83, 0x37800000, v81
	v_cndmask_b32_e32 v81, v81, v83, vcc
	v_cmp_class_f32_e32 vcc, v77, v86
	s_nop 1
	v_cndmask_b32_e32 v113, v81, v77, vcc
	v_pk_add_f32 v[114:115], v[112:113], v[82:83] op_sel_hi:[1,0] neg_lo:[0,1] neg_hi:[0,1]
	v_pk_fma_f32 v[112:113], v[80:81], v[112:113], 1.0 op_sel_hi:[0,1,0] neg_lo:[1,0,0] neg_hi:[1,0,0]
	v_cmp_gt_f32_e32 vcc, 0, v114
	v_cmp_gt_f32_e64 s[0:1], 0, v115
	v_cmp_lt_f32_e64 s[12:13], v114, v75
	v_cndmask_b32_e32 v126, 0, v87, vcc
	v_cndmask_b32_e64 v127, 0, v87, s[0:1]
	v_pk_fma_f32 v[102:103], v[112:113], v[126:127], v[102:103]
	v_pk_fma_f32 v[112:113], v[74:75], v[114:115], 1.0 op_sel_hi:[0,1,0] neg_lo:[1,0,0] neg_hi:[1,0,0]
	v_cmp_lt_f32_e64 s[16:17], v115, v75
	v_cndmask_b32_e64 v113, v113, 1.0, s[0:1]
	v_cndmask_b32_e64 v112, v112, 1.0, vcc
	v_cndmask_b32_e64 v127, 0, 1.0, s[16:17]
	v_cndmask_b32_e64 v126, 0, 1.0, s[12:13]
	v_pk_mul_f32 v[112:113], v[126:127], v[112:113]
	v_cmp_lt_f32_e64 s[12:13], v115, v5
	v_pk_mul_f32 v[112:113], v[78:79], v[112:113] op_sel_hi:[0,1]
	v_cmp_lt_f32_e64 s[16:17], v114, v5
	v_cndmask_b32_e64 v113, v113, -|v113|, s[34:35]
	v_cndmask_b32_e64 v112, v112, -|v112|, s[34:35]
	s_and_b64 s[16:17], s[10:11], s[16:17]
	s_and_b64 s[12:13], s[10:11], s[12:13]
	v_pk_fma_f32 v[102:103], v[112:113], s[28:29], v[102:103] op_sel_hi:[1,0,1]
	v_pk_fma_f32 v[112:113], v[76:77], v[114:115], 1.0 op_sel_hi:[0,1,0] neg_lo:[1,0,0] neg_hi:[1,0,0]
	v_cndmask_b32_e64 v115, 0, 1.0, s[12:13]
	v_cndmask_b32_e64 v114, 0, 1.0, s[16:17]
	v_pk_mul_f32 v[114:115], v[116:117], v[114:115] op_sel_hi:[0,1]
	v_cndmask_b32_e64 v113, v113, 1.0, s[0:1]
	v_cndmask_b32_e64 v112, v112, 1.0, vcc
	v_pk_fma_f32 v[102:103], v[112:113], v[114:115], v[102:103]
	v_pk_add_f32 v[112:113], v[50:51], v[84:85] neg_lo:[0,1] neg_hi:[0,1]
	v_sub_f32_e32 v77, v33, v125
	v_pk_mul_f32 v[112:113], v[112:113], v[112:113]
	s_nop 0
	v_fma_f32 v77, v77, v77, v112
	v_add_f32_e32 v77, v77, v113
	v_cmp_gt_f32_e32 vcc, s39, v77
	v_mul_f32_e32 v81, 0x4f800000, v77
	s_nop 0
	v_cndmask_b32_e32 v77, v77, v81, vcc
	v_sqrt_f32_e32 v81, v77
	s_nop 0
	v_add_u32_e32 v83, -1, v81
	v_fma_f32 v112, -v83, v81, v77
	v_cmp_ge_f32_e64 s[0:1], 0, v112
	v_add_u32_e32 v112, 1, v81
	s_nop 0
	v_cndmask_b32_e64 v83, v81, v83, s[0:1]
	v_fma_f32 v81, -v112, v81, v77
	v_cmp_lt_f32_e64 s[0:1], 0, v81
	s_nop 1
	v_cndmask_b32_e64 v81, v83, v112, s[0:1]
	v_mul_f32_e32 v83, 0x37800000, v81
	v_cndmask_b32_e32 v81, v81, v83, vcc
	v_cmp_class_f32_e32 vcc, v77, v86
	v_pk_add_f32 v[112:113], v[28:29], v[84:85] neg_lo:[0,1] neg_hi:[0,1]
	s_nop 0
	v_cndmask_b32_e32 v126, v81, v77, vcc
	v_sub_f32_e32 v77, v106, v125
	v_pk_mul_f32 v[112:113], v[112:113], v[112:113]
	s_nop 0
	v_fma_f32 v77, v77, v77, v112
	v_add_f32_e32 v77, v77, v113
	v_cmp_gt_f32_e32 vcc, s39, v77
	v_mul_f32_e32 v81, 0x4f800000, v77
	s_nop 0
	v_cndmask_b32_e32 v77, v77, v81, vcc
	v_sqrt_f32_e32 v81, v77
	s_nop 0
	v_add_u32_e32 v83, -1, v81
	v_fma_f32 v112, -v83, v81, v77
	v_cmp_ge_f32_e64 s[0:1], 0, v112
	v_add_u32_e32 v112, 1, v81
	s_nop 0
	v_cndmask_b32_e64 v83, v81, v83, s[0:1]
	v_fma_f32 v81, -v112, v81, v77
	v_cmp_lt_f32_e64 s[0:1], 0, v81
	s_nop 1
	v_cndmask_b32_e64 v81, v83, v112, s[0:1]
	v_mul_f32_e32 v83, 0x37800000, v81
	v_cndmask_b32_e32 v81, v81, v83, vcc
	v_cmp_class_f32_e32 vcc, v77, v86
	s_nop 1
	v_cndmask_b32_e32 v127, v81, v77, vcc
	v_pk_add_f32 v[112:113], v[126:127], v[82:83] op_sel_hi:[1,0] neg_lo:[0,1] neg_hi:[0,1]
	v_pk_fma_f32 v[114:115], v[80:81], v[126:127], 1.0 op_sel_hi:[0,1,0] neg_lo:[1,0,0] neg_hi:[1,0,0]
	v_cmp_gt_f32_e32 vcc, 0, v112
	v_cmp_gt_f32_e64 s[0:1], 0, v113
	v_cmp_lt_f32_e64 s[12:13], v112, v75
	v_cndmask_b32_e32 v126, 0, v87, vcc
	v_cndmask_b32_e64 v127, 0, v87, s[0:1]
	v_pk_fma_f32 v[104:105], v[114:115], v[126:127], v[104:105]
	v_pk_fma_f32 v[114:115], v[74:75], v[112:113], 1.0 op_sel_hi:[0,1,0] neg_lo:[1,0,0] neg_hi:[1,0,0]
	v_cmp_lt_f32_e64 s[16:17], v113, v75
	v_cndmask_b32_e64 v115, v115, 1.0, s[0:1]
	v_cndmask_b32_e64 v114, v114, 1.0, vcc
	v_cndmask_b32_e64 v127, 0, 1.0, s[16:17]
	v_cndmask_b32_e64 v126, 0, 1.0, s[12:13]
	v_pk_mul_f32 v[114:115], v[126:127], v[114:115]
	v_cmp_lt_f32_e64 s[12:13], v113, v5
	v_pk_mul_f32 v[114:115], v[78:79], v[114:115] op_sel_hi:[0,1]
	v_cmp_lt_f32_e64 s[16:17], v112, v5
	v_cndmask_b32_e64 v115, v115, -|v115|, s[34:35]
	v_cndmask_b32_e64 v114, v114, -|v114|, s[34:35]
	s_and_b64 s[16:17], s[10:11], s[16:17]
	s_and_b64 s[12:13], s[10:11], s[12:13]
	v_pk_fma_f32 v[104:105], v[114:115], s[28:29], v[104:105] op_sel_hi:[1,0,1]
	v_pk_fma_f32 v[114:115], v[76:77], v[112:113], 1.0 op_sel_hi:[0,1,0] neg_lo:[1,0,0] neg_hi:[1,0,0]
	v_cndmask_b32_e64 v113, 0, 1.0, s[12:13]
	v_cndmask_b32_e64 v112, 0, 1.0, s[16:17]
	v_pk_mul_f32 v[112:113], v[116:117], v[112:113] op_sel_hi:[0,1]
	v_cndmask_b32_e64 v115, v115, 1.0, s[0:1]
	v_cndmask_b32_e64 v114, v114, 1.0, vcc
	v_pk_fma_f32 v[104:105], v[114:115], v[112:113], v[104:105]
	v_pk_add_f32 v[112:113], v[14:15], v[84:85] neg_lo:[0,1] neg_hi:[0,1]
	v_sub_f32_e32 v77, v107, v125
	v_pk_mul_f32 v[112:113], v[112:113], v[112:113]
	v_pk_add_f32 v[114:115], v[122:123], v[84:85] neg_lo:[0,1] neg_hi:[0,1]
	v_fma_f32 v77, v77, v77, v112
	v_add_f32_e32 v77, v77, v113
	v_cmp_gt_f32_e32 vcc, s39, v77
	v_mul_f32_e32 v81, 0x4f800000, v77
	v_pk_mul_f32 v[114:115], v[114:115], v[114:115]
	v_cndmask_b32_e32 v77, v77, v81, vcc
	v_sqrt_f32_e32 v81, v77
	s_nop 0
	v_add_u32_e32 v83, -1, v81
	v_fma_f32 v112, -v83, v81, v77
	v_cmp_ge_f32_e64 s[0:1], 0, v112
	v_add_u32_e32 v112, 1, v81
	s_nop 0
	v_cndmask_b32_e64 v83, v81, v83, s[0:1]
	v_fma_f32 v81, -v112, v81, v77
	v_cmp_lt_f32_e64 s[0:1], 0, v81
	s_nop 1
	v_cndmask_b32_e64 v81, v83, v112, s[0:1]
	v_mul_f32_e32 v83, 0x37800000, v81
	v_cndmask_b32_e32 v81, v81, v83, vcc
	v_cmp_class_f32_e32 vcc, v77, v86
	s_nop 1
	v_cndmask_b32_e32 v112, v81, v77, vcc
	v_sub_f32_e32 v77, v48, v125
	v_fma_f32 v77, v77, v77, v114
	v_add_f32_e32 v77, v77, v115
	v_cmp_gt_f32_e32 vcc, s39, v77
	v_mul_f32_e32 v81, 0x4f800000, v77
	s_nop 0
	v_cndmask_b32_e32 v77, v77, v81, vcc
	v_sqrt_f32_e32 v81, v77
	s_nop 0
	v_add_u32_e32 v83, -1, v81
	v_fma_f32 v113, -v83, v81, v77
	v_cmp_ge_f32_e64 s[0:1], 0, v113
	v_add_u32_e32 v113, 1, v81
	s_nop 0
	v_cndmask_b32_e64 v83, v81, v83, s[0:1]
	v_fma_f32 v81, -v113, v81, v77
	v_cmp_lt_f32_e64 s[0:1], 0, v81
	s_nop 1
	v_cndmask_b32_e64 v81, v83, v113, s[0:1]
	v_mul_f32_e32 v83, 0x37800000, v81
	v_cndmask_b32_e32 v81, v81, v83, vcc
	v_cmp_class_f32_e32 vcc, v77, v86
	s_nop 1
	v_cndmask_b32_e32 v113, v81, v77, vcc
	v_pk_add_f32 v[114:115], v[112:113], v[82:83] op_sel_hi:[1,0] neg_lo:[0,1] neg_hi:[0,1]
	v_pk_fma_f32 v[112:113], v[80:81], v[112:113], 1.0 op_sel_hi:[0,1,0] neg_lo:[1,0,0] neg_hi:[1,0,0]
	v_cmp_gt_f32_e32 vcc, 0, v114
	v_cmp_gt_f32_e64 s[0:1], 0, v115
	v_cmp_lt_f32_e64 s[12:13], v114, v75
	v_cndmask_b32_e32 v126, 0, v87, vcc
	v_cndmask_b32_e64 v127, 0, v87, s[0:1]
	v_pk_fma_f32 v[94:95], v[112:113], v[126:127], v[94:95]
	v_pk_fma_f32 v[112:113], v[74:75], v[114:115], 1.0 op_sel_hi:[0,1,0] neg_lo:[1,0,0] neg_hi:[1,0,0]
	v_cmp_lt_f32_e64 s[16:17], v115, v75
	v_cndmask_b32_e64 v113, v113, 1.0, s[0:1]
	v_cndmask_b32_e64 v112, v112, 1.0, vcc
	v_cndmask_b32_e64 v127, 0, 1.0, s[16:17]
	v_cndmask_b32_e64 v126, 0, 1.0, s[12:13]
	v_pk_mul_f32 v[112:113], v[126:127], v[112:113]
	v_cmp_lt_f32_e64 s[12:13], v115, v5
	v_pk_mul_f32 v[112:113], v[78:79], v[112:113] op_sel_hi:[0,1]
	v_cmp_lt_f32_e64 s[16:17], v114, v5
	v_cndmask_b32_e64 v113, v113, -|v113|, s[34:35]
	v_cndmask_b32_e64 v112, v112, -|v112|, s[34:35]
	s_and_b64 s[16:17], s[10:11], s[16:17]
	s_and_b64 s[12:13], s[10:11], s[12:13]
	v_pk_fma_f32 v[94:95], v[112:113], s[28:29], v[94:95] op_sel_hi:[1,0,1]
	v_pk_fma_f32 v[112:113], v[76:77], v[114:115], 1.0 op_sel_hi:[0,1,0] neg_lo:[1,0,0] neg_hi:[1,0,0]
	v_cndmask_b32_e64 v115, 0, 1.0, s[12:13]
	v_cndmask_b32_e64 v114, 0, 1.0, s[16:17]
	v_pk_mul_f32 v[114:115], v[116:117], v[114:115] op_sel_hi:[0,1]
	v_cndmask_b32_e64 v113, v113, 1.0, s[0:1]
	v_cndmask_b32_e64 v112, v112, 1.0, vcc
	v_pk_fma_f32 v[94:95], v[112:113], v[114:115], v[94:95]
	v_pk_add_f32 v[112:113], v[6:7], v[84:85] neg_lo:[0,1] neg_hi:[0,1]
	v_sub_f32_e32 v77, v49, v125
	v_pk_mul_f32 v[112:113], v[112:113], v[112:113]
	s_nop 0
	v_fma_f32 v77, v77, v77, v112
	v_add_f32_e32 v77, v77, v113
	v_cmp_gt_f32_e32 vcc, s39, v77
	v_mul_f32_e32 v81, 0x4f800000, v77
	s_nop 0
	v_cndmask_b32_e32 v77, v77, v81, vcc
	v_sqrt_f32_e32 v81, v77
	s_nop 0
	v_add_u32_e32 v83, -1, v81
	v_fma_f32 v112, -v83, v81, v77
	v_cmp_ge_f32_e64 s[0:1], 0, v112
	v_add_u32_e32 v112, 1, v81
	s_nop 0
	v_cndmask_b32_e64 v83, v81, v83, s[0:1]
	v_fma_f32 v81, -v112, v81, v77
	v_cmp_lt_f32_e64 s[0:1], 0, v81
	s_nop 1
	v_cndmask_b32_e64 v81, v83, v112, s[0:1]
	v_mul_f32_e32 v83, 0x37800000, v81
	v_cndmask_b32_e32 v81, v81, v83, vcc
	v_cmp_class_f32_e32 vcc, v77, v86
	v_pk_add_f32 v[112:113], v[8:9], v[84:85] neg_lo:[0,1] neg_hi:[0,1]
	s_nop 0
	v_cndmask_b32_e32 v126, v81, v77, vcc
	v_sub_f32_e32 v77, v10, v125
	v_pk_mul_f32 v[112:113], v[112:113], v[112:113]
	s_nop 0
	v_fma_f32 v77, v77, v77, v112
	v_add_f32_e32 v77, v77, v113
	v_cmp_gt_f32_e32 vcc, s39, v77
	v_mul_f32_e32 v81, 0x4f800000, v77
	s_nop 0
	v_cndmask_b32_e32 v77, v77, v81, vcc
	v_sqrt_f32_e32 v81, v77
	s_nop 0
	v_add_u32_e32 v83, -1, v81
	v_fma_f32 v112, -v83, v81, v77
	v_cmp_ge_f32_e64 s[0:1], 0, v112
	v_add_u32_e32 v112, 1, v81
	s_nop 0
	v_cndmask_b32_e64 v83, v81, v83, s[0:1]
	v_fma_f32 v81, -v112, v81, v77
	v_cmp_lt_f32_e64 s[0:1], 0, v81
	s_nop 1
	v_cndmask_b32_e64 v81, v83, v112, s[0:1]
	v_mul_f32_e32 v83, 0x37800000, v81
	v_cndmask_b32_e32 v81, v81, v83, vcc
	v_cmp_class_f32_e32 vcc, v77, v86
	s_nop 1
	v_cndmask_b32_e32 v127, v81, v77, vcc
	v_pk_add_f32 v[112:113], v[126:127], v[82:83] op_sel_hi:[1,0] neg_lo:[0,1] neg_hi:[0,1]
	v_pk_fma_f32 v[114:115], v[80:81], v[126:127], 1.0 op_sel_hi:[0,1,0] neg_lo:[1,0,0] neg_hi:[1,0,0]
	v_cmp_gt_f32_e32 vcc, 0, v112
	v_cmp_gt_f32_e64 s[0:1], 0, v113
	v_cmp_lt_f32_e64 s[12:13], v112, v75
	v_cndmask_b32_e32 v126, 0, v87, vcc
	v_cndmask_b32_e64 v127, 0, v87, s[0:1]
	v_pk_fma_f32 v[96:97], v[114:115], v[126:127], v[96:97]
	v_pk_fma_f32 v[114:115], v[74:75], v[112:113], 1.0 op_sel_hi:[0,1,0] neg_lo:[1,0,0] neg_hi:[1,0,0]
	v_cmp_lt_f32_e64 s[16:17], v113, v75
	v_cndmask_b32_e64 v115, v115, 1.0, s[0:1]
	v_cndmask_b32_e64 v114, v114, 1.0, vcc
	v_cndmask_b32_e64 v127, 0, 1.0, s[16:17]
	v_cndmask_b32_e64 v126, 0, 1.0, s[12:13]
	v_pk_mul_f32 v[114:115], v[126:127], v[114:115]
	v_cmp_lt_f32_e64 s[12:13], v113, v5
	v_pk_mul_f32 v[114:115], v[78:79], v[114:115] op_sel_hi:[0,1]
	v_cmp_lt_f32_e64 s[16:17], v112, v5
	v_cndmask_b32_e64 v115, v115, -|v115|, s[34:35]
	v_cndmask_b32_e64 v114, v114, -|v114|, s[34:35]
	s_and_b64 s[16:17], s[10:11], s[16:17]
	s_and_b64 s[12:13], s[10:11], s[12:13]
	v_pk_fma_f32 v[96:97], v[114:115], s[28:29], v[96:97] op_sel_hi:[1,0,1]
	v_pk_fma_f32 v[114:115], v[76:77], v[112:113], 1.0 op_sel_hi:[0,1,0] neg_lo:[1,0,0] neg_hi:[1,0,0]
	v_cndmask_b32_e64 v113, 0, 1.0, s[12:13]
	v_cndmask_b32_e64 v112, 0, 1.0, s[16:17]
	v_pk_mul_f32 v[112:113], v[116:117], v[112:113] op_sel_hi:[0,1]
	v_cndmask_b32_e64 v115, v115, 1.0, s[0:1]
	v_cndmask_b32_e64 v114, v114, 1.0, vcc
	v_pk_fma_f32 v[96:97], v[114:115], v[112:113], v[96:97]
	v_pk_add_f32 v[112:113], v[18:19], v[84:85] neg_lo:[0,1] neg_hi:[0,1]
	v_sub_f32_e32 v77, v11, v125
	v_pk_mul_f32 v[112:113], v[112:113], v[112:113]
	v_pk_add_f32 v[114:115], v[20:21], v[84:85] neg_lo:[0,1] neg_hi:[0,1]
	v_fma_f32 v77, v77, v77, v112
	v_add_f32_e32 v77, v77, v113
	v_cmp_gt_f32_e32 vcc, s39, v77
	v_mul_f32_e32 v81, 0x4f800000, v77
	v_pk_mul_f32 v[114:115], v[114:115], v[114:115]
	v_cndmask_b32_e32 v77, v77, v81, vcc
	v_sqrt_f32_e32 v81, v77
	s_nop 0
	v_add_u32_e32 v83, -1, v81
	v_fma_f32 v112, -v83, v81, v77
	v_cmp_ge_f32_e64 s[0:1], 0, v112
	v_add_u32_e32 v112, 1, v81
	s_nop 0
	v_cndmask_b32_e64 v83, v81, v83, s[0:1]
	v_fma_f32 v81, -v112, v81, v77
	v_cmp_lt_f32_e64 s[0:1], 0, v81
	s_nop 1
	v_cndmask_b32_e64 v81, v83, v112, s[0:1]
	v_mul_f32_e32 v83, 0x37800000, v81
	v_cndmask_b32_e32 v81, v81, v83, vcc
	v_cmp_class_f32_e32 vcc, v77, v86
	s_nop 1
	v_cndmask_b32_e32 v112, v81, v77, vcc
	v_sub_f32_e32 v77, v12, v125
	v_fma_f32 v77, v77, v77, v114
	v_add_f32_e32 v77, v77, v115
	v_cmp_gt_f32_e32 vcc, s39, v77
	v_mul_f32_e32 v81, 0x4f800000, v77
	s_nop 0
	v_cndmask_b32_e32 v77, v77, v81, vcc
	v_sqrt_f32_e32 v81, v77
	s_nop 0
	v_add_u32_e32 v83, -1, v81
	v_fma_f32 v113, -v83, v81, v77
	v_cmp_ge_f32_e64 s[0:1], 0, v113
	v_add_u32_e32 v113, 1, v81
	s_nop 0
	v_cndmask_b32_e64 v83, v81, v83, s[0:1]
	v_fma_f32 v81, -v113, v81, v77
	v_cmp_lt_f32_e64 s[0:1], 0, v81
	s_nop 1
	v_cndmask_b32_e64 v81, v83, v113, s[0:1]
	v_mul_f32_e32 v83, 0x37800000, v81
	v_cndmask_b32_e32 v81, v81, v83, vcc
	v_cmp_class_f32_e32 vcc, v77, v86
	s_nop 1
	v_cndmask_b32_e32 v113, v81, v77, vcc
	v_pk_add_f32 v[114:115], v[112:113], v[82:83] op_sel_hi:[1,0] neg_lo:[0,1] neg_hi:[0,1]
	v_pk_fma_f32 v[112:113], v[80:81], v[112:113], 1.0 op_sel_hi:[0,1,0] neg_lo:[1,0,0] neg_hi:[1,0,0]
	v_cmp_gt_f32_e32 vcc, 0, v114
	v_cmp_gt_f32_e64 s[0:1], 0, v115
	v_cmp_lt_f32_e64 s[12:13], v114, v75
	v_cndmask_b32_e32 v126, 0, v87, vcc
	v_cndmask_b32_e64 v127, 0, v87, s[0:1]
	v_pk_fma_f32 v[44:45], v[112:113], v[126:127], v[44:45]
	v_pk_fma_f32 v[112:113], v[74:75], v[114:115], 1.0 op_sel_hi:[0,1,0] neg_lo:[1,0,0] neg_hi:[1,0,0]
	v_cmp_lt_f32_e64 s[16:17], v115, v75
	v_cndmask_b32_e64 v113, v113, 1.0, s[0:1]
	v_cndmask_b32_e64 v112, v112, 1.0, vcc
	v_cndmask_b32_e64 v127, 0, 1.0, s[16:17]
	v_cndmask_b32_e64 v126, 0, 1.0, s[12:13]
	v_pk_mul_f32 v[112:113], v[126:127], v[112:113]
	v_cmp_lt_f32_e64 s[12:13], v115, v5
	v_pk_mul_f32 v[112:113], v[78:79], v[112:113] op_sel_hi:[0,1]
	v_cmp_lt_f32_e64 s[16:17], v114, v5
	v_cndmask_b32_e64 v113, v113, -|v113|, s[34:35]
	v_cndmask_b32_e64 v112, v112, -|v112|, s[34:35]
	s_and_b64 s[16:17], s[10:11], s[16:17]
	s_and_b64 s[12:13], s[10:11], s[12:13]
	v_pk_fma_f32 v[44:45], v[112:113], s[28:29], v[44:45] op_sel_hi:[1,0,1]
	v_pk_fma_f32 v[112:113], v[76:77], v[114:115], 1.0 op_sel_hi:[0,1,0] neg_lo:[1,0,0] neg_hi:[1,0,0]
	v_cndmask_b32_e64 v115, 0, 1.0, s[12:13]
	v_cndmask_b32_e64 v114, 0, 1.0, s[16:17]
	v_pk_mul_f32 v[114:115], v[116:117], v[114:115] op_sel_hi:[0,1]
	v_cndmask_b32_e64 v113, v113, 1.0, s[0:1]
	v_cndmask_b32_e64 v112, v112, 1.0, vcc
	v_pk_fma_f32 v[44:45], v[112:113], v[114:115], v[44:45]
	v_pk_add_f32 v[112:113], v[98:99], v[84:85] neg_lo:[0,1] neg_hi:[0,1]
	v_sub_f32_e32 v77, v13, v125
	v_pk_mul_f32 v[112:113], v[112:113], v[112:113]
	s_nop 0
	v_fma_f32 v77, v77, v77, v112
	v_add_f32_e32 v77, v77, v113
	v_cmp_gt_f32_e32 vcc, s39, v77
	v_mul_f32_e32 v81, 0x4f800000, v77
	s_nop 0
	v_cndmask_b32_e32 v77, v77, v81, vcc
	v_sqrt_f32_e32 v81, v77
	s_nop 0
	v_add_u32_e32 v83, -1, v81
	v_fma_f32 v112, -v83, v81, v77
	v_cmp_ge_f32_e64 s[0:1], 0, v112
	v_add_u32_e32 v112, 1, v81
	s_nop 0
	v_cndmask_b32_e64 v83, v81, v83, s[0:1]
	v_fma_f32 v81, -v112, v81, v77
	v_cmp_lt_f32_e64 s[0:1], 0, v81
	s_nop 1
	v_cndmask_b32_e64 v81, v83, v112, s[0:1]
	v_mul_f32_e32 v83, 0x37800000, v81
	v_cndmask_b32_e32 v81, v81, v83, vcc
	v_cmp_class_f32_e32 vcc, v77, v86
	v_pk_add_f32 v[112:113], v[100:101], v[84:85] neg_lo:[0,1] neg_hi:[0,1]
	s_nop 0
	v_cndmask_b32_e32 v126, v81, v77, vcc
	v_sub_f32_e32 v77, v24, v125
	v_pk_mul_f32 v[112:113], v[112:113], v[112:113]
	s_nop 0
	v_fma_f32 v77, v77, v77, v112
	v_add_f32_e32 v77, v77, v113
	v_cmp_gt_f32_e32 vcc, s39, v77
	v_mul_f32_e32 v81, 0x4f800000, v77
	s_nop 0
	v_cndmask_b32_e32 v77, v77, v81, vcc
	v_sqrt_f32_e32 v81, v77
	s_nop 0
	v_add_u32_e32 v83, -1, v81
	v_fma_f32 v112, -v83, v81, v77
	v_cmp_ge_f32_e64 s[0:1], 0, v112
	v_add_u32_e32 v112, 1, v81
	s_nop 0
	v_cndmask_b32_e64 v83, v81, v83, s[0:1]
	v_fma_f32 v81, -v112, v81, v77
	v_cmp_lt_f32_e64 s[0:1], 0, v81
	s_nop 1
	v_cndmask_b32_e64 v81, v83, v112, s[0:1]
	v_mul_f32_e32 v83, 0x37800000, v81
	v_cndmask_b32_e32 v81, v81, v83, vcc
	v_cmp_class_f32_e32 vcc, v77, v86
	s_nop 1
	v_cndmask_b32_e32 v127, v81, v77, vcc
	v_pk_add_f32 v[112:113], v[126:127], v[82:83] op_sel_hi:[1,0] neg_lo:[0,1] neg_hi:[0,1]
	v_pk_fma_f32 v[114:115], v[80:81], v[126:127], 1.0 op_sel_hi:[0,1,0] neg_lo:[1,0,0] neg_hi:[1,0,0]
	v_cmp_gt_f32_e32 vcc, 0, v112
	v_cmp_gt_f32_e64 s[0:1], 0, v113
	v_cmp_lt_f32_e64 s[12:13], v112, v75
	v_cndmask_b32_e32 v126, 0, v87, vcc
	v_cndmask_b32_e64 v127, 0, v87, s[0:1]
	v_pk_fma_f32 v[46:47], v[114:115], v[126:127], v[46:47]
	v_pk_fma_f32 v[114:115], v[74:75], v[112:113], 1.0 op_sel_hi:[0,1,0] neg_lo:[1,0,0] neg_hi:[1,0,0]
	v_cmp_lt_f32_e64 s[16:17], v113, v75
	v_cndmask_b32_e64 v115, v115, 1.0, s[0:1]
	v_cndmask_b32_e64 v114, v114, 1.0, vcc
	v_cndmask_b32_e64 v127, 0, 1.0, s[16:17]
	v_cndmask_b32_e64 v126, 0, 1.0, s[12:13]
	v_pk_mul_f32 v[114:115], v[126:127], v[114:115]
	v_cmp_lt_f32_e64 s[12:13], v113, v5
	v_pk_mul_f32 v[114:115], v[78:79], v[114:115] op_sel_hi:[0,1]
	v_cmp_lt_f32_e64 s[16:17], v112, v5
	v_cndmask_b32_e64 v115, v115, -|v115|, s[34:35]
	v_cndmask_b32_e64 v114, v114, -|v114|, s[34:35]
	s_and_b64 s[16:17], s[10:11], s[16:17]
	s_and_b64 s[12:13], s[10:11], s[12:13]
	v_pk_fma_f32 v[46:47], v[114:115], s[28:29], v[46:47] op_sel_hi:[1,0,1]
	v_pk_fma_f32 v[114:115], v[76:77], v[112:113], 1.0 op_sel_hi:[0,1,0] neg_lo:[1,0,0] neg_hi:[1,0,0]
	v_cndmask_b32_e64 v113, 0, 1.0, s[12:13]
	v_cndmask_b32_e64 v112, 0, 1.0, s[16:17]
	v_pk_mul_f32 v[112:113], v[116:117], v[112:113] op_sel_hi:[0,1]
	v_cndmask_b32_e64 v115, v115, 1.0, s[0:1]
	v_cndmask_b32_e64 v114, v114, 1.0, vcc
	v_pk_fma_f32 v[46:47], v[114:115], v[112:113], v[46:47]
	v_pk_add_f32 v[112:113], v[66:67], v[84:85] neg_lo:[0,1] neg_hi:[0,1]
	v_sub_f32_e32 v77, v25, v125
	v_pk_mul_f32 v[112:113], v[112:113], v[112:113]
	v_pk_add_f32 v[114:115], v[68:69], v[84:85] neg_lo:[0,1] neg_hi:[0,1]
	v_fma_f32 v77, v77, v77, v112
	v_add_f32_e32 v77, v77, v113
	v_cmp_gt_f32_e32 vcc, s39, v77
	v_mul_f32_e32 v81, 0x4f800000, v77
	v_pk_mul_f32 v[114:115], v[114:115], v[114:115]
	v_cndmask_b32_e32 v77, v77, v81, vcc
	v_sqrt_f32_e32 v81, v77
	s_nop 0
	v_add_u32_e32 v83, -1, v81
	v_fma_f32 v112, -v83, v81, v77
	v_cmp_ge_f32_e64 s[0:1], 0, v112
	v_add_u32_e32 v112, 1, v81
	s_nop 0
	v_cndmask_b32_e64 v83, v81, v83, s[0:1]
	v_fma_f32 v81, -v112, v81, v77
	v_cmp_lt_f32_e64 s[0:1], 0, v81
	s_nop 1
	v_cndmask_b32_e64 v81, v83, v112, s[0:1]
	v_mul_f32_e32 v83, 0x37800000, v81
	v_cndmask_b32_e32 v81, v81, v83, vcc
	v_cmp_class_f32_e32 vcc, v77, v86
	s_nop 1
	v_cndmask_b32_e32 v112, v81, v77, vcc
	v_sub_f32_e32 v77, v26, v125
	v_fma_f32 v77, v77, v77, v114
	v_add_f32_e32 v77, v77, v115
	v_cmp_gt_f32_e32 vcc, s39, v77
	v_mul_f32_e32 v81, 0x4f800000, v77
	s_nop 0
	v_cndmask_b32_e32 v77, v77, v81, vcc
	v_sqrt_f32_e32 v81, v77
	s_nop 0
	v_add_u32_e32 v83, -1, v81
	v_fma_f32 v113, -v83, v81, v77
	v_cmp_ge_f32_e64 s[0:1], 0, v113
	v_add_u32_e32 v113, 1, v81
	s_nop 0
	v_cndmask_b32_e64 v83, v81, v83, s[0:1]
	v_fma_f32 v81, -v113, v81, v77
	v_cmp_lt_f32_e64 s[0:1], 0, v81
	s_nop 1
	v_cndmask_b32_e64 v81, v83, v113, s[0:1]
	v_mul_f32_e32 v83, 0x37800000, v81
	v_cndmask_b32_e32 v81, v81, v83, vcc
	v_cmp_class_f32_e32 vcc, v77, v86
	s_nop 1
	v_cndmask_b32_e32 v113, v81, v77, vcc
	v_pk_add_f32 v[114:115], v[112:113], v[82:83] op_sel_hi:[1,0] neg_lo:[0,1] neg_hi:[0,1]
	v_pk_fma_f32 v[112:113], v[80:81], v[112:113], 1.0 op_sel_hi:[0,1,0] neg_lo:[1,0,0] neg_hi:[1,0,0]
	v_cmp_gt_f32_e32 vcc, 0, v114
	v_cmp_gt_f32_e64 s[0:1], 0, v115
	v_cmp_lt_f32_e64 s[12:13], v114, v75
	v_cndmask_b32_e32 v126, 0, v87, vcc
	v_cndmask_b32_e64 v127, 0, v87, s[0:1]
	v_pk_fma_f32 v[90:91], v[112:113], v[126:127], v[90:91]
	v_pk_fma_f32 v[112:113], v[74:75], v[114:115], 1.0 op_sel_hi:[0,1,0] neg_lo:[1,0,0] neg_hi:[1,0,0]
	v_cmp_lt_f32_e64 s[16:17], v115, v75
	v_cndmask_b32_e64 v113, v113, 1.0, s[0:1]
	v_cndmask_b32_e64 v112, v112, 1.0, vcc
	v_cndmask_b32_e64 v127, 0, 1.0, s[16:17]
	v_cndmask_b32_e64 v126, 0, 1.0, s[12:13]
	v_pk_mul_f32 v[112:113], v[126:127], v[112:113]
	v_cmp_lt_f32_e64 s[12:13], v115, v5
	v_pk_mul_f32 v[112:113], v[78:79], v[112:113] op_sel_hi:[0,1]
	v_cmp_lt_f32_e64 s[16:17], v114, v5
	v_cndmask_b32_e64 v113, v113, -|v113|, s[34:35]
	v_cndmask_b32_e64 v112, v112, -|v112|, s[34:35]
	s_and_b64 s[16:17], s[10:11], s[16:17]
	s_and_b64 s[12:13], s[10:11], s[12:13]
	v_pk_fma_f32 v[90:91], v[112:113], s[28:29], v[90:91] op_sel_hi:[1,0,1]
	v_pk_fma_f32 v[112:113], v[76:77], v[114:115], 1.0 op_sel_hi:[0,1,0] neg_lo:[1,0,0] neg_hi:[1,0,0]
	v_cndmask_b32_e64 v115, 0, 1.0, s[12:13]
	v_cndmask_b32_e64 v114, 0, 1.0, s[16:17]
	v_pk_mul_f32 v[114:115], v[116:117], v[114:115] op_sel_hi:[0,1]
	v_cndmask_b32_e64 v113, v113, 1.0, s[0:1]
	v_cndmask_b32_e64 v112, v112, 1.0, vcc
	v_pk_fma_f32 v[90:91], v[112:113], v[114:115], v[90:91]
	v_pk_add_f32 v[112:113], v[70:71], v[84:85] neg_lo:[0,1] neg_hi:[0,1]
	v_sub_f32_e32 v77, v27, v125
	v_pk_mul_f32 v[112:113], v[112:113], v[112:113]
	v_pk_add_f32 v[84:85], v[72:73], v[84:85] neg_lo:[0,1] neg_hi:[0,1]
	v_fma_f32 v77, v77, v77, v112
	v_add_f32_e32 v77, v77, v113
	v_cmp_gt_f32_e32 vcc, s39, v77
	v_mul_f32_e32 v81, 0x4f800000, v77
	v_pk_mul_f32 v[84:85], v[84:85], v[84:85]
	v_cndmask_b32_e32 v77, v77, v81, vcc
	v_sqrt_f32_e32 v81, v77
	s_nop 0
	v_add_u32_e32 v83, -1, v81
	v_fma_f32 v112, -v83, v81, v77
	v_cmp_ge_f32_e64 s[0:1], 0, v112
	v_add_u32_e32 v112, 1, v81
	s_nop 0
	v_cndmask_b32_e64 v83, v81, v83, s[0:1]
	v_fma_f32 v81, -v112, v81, v77
	v_cmp_lt_f32_e64 s[0:1], 0, v81
	s_nop 1
	v_cndmask_b32_e64 v81, v83, v112, s[0:1]
	v_mul_f32_e32 v83, 0x37800000, v81
	v_cndmask_b32_e32 v81, v81, v83, vcc
	v_cmp_class_f32_e32 vcc, v77, v86
	s_nop 1
	v_cndmask_b32_e32 v124, v81, v77, vcc
	v_sub_f32_e32 v77, v2, v125
	v_fma_f32 v77, v77, v77, v84
	v_add_f32_e32 v77, v77, v85
	v_cmp_gt_f32_e32 vcc, s39, v77
	v_mul_f32_e32 v81, 0x4f800000, v77
	s_nop 0
	v_cndmask_b32_e32 v77, v77, v81, vcc
	v_sqrt_f32_e32 v81, v77
	s_nop 0
	v_add_u32_e32 v83, -1, v81
	v_fma_f32 v84, -v83, v81, v77
	v_cmp_ge_f32_e64 s[0:1], 0, v84
	v_add_u32_e32 v84, 1, v81
	s_nop 0
	v_cndmask_b32_e64 v83, v81, v83, s[0:1]
	v_fma_f32 v81, -v84, v81, v77
	v_cmp_lt_f32_e64 s[0:1], 0, v81
	s_nop 1
	v_cndmask_b32_e64 v81, v83, v84, s[0:1]
	v_mul_f32_e32 v83, 0x37800000, v81
	v_cndmask_b32_e32 v81, v81, v83, vcc
	v_cmp_class_f32_e32 vcc, v77, v86
	s_nop 1
	v_cndmask_b32_e32 v125, v81, v77, vcc
	v_pk_add_f32 v[82:83], v[124:125], v[82:83] op_sel_hi:[1,0] neg_lo:[0,1] neg_hi:[0,1]
	v_pk_fma_f32 v[80:81], v[80:81], v[124:125], 1.0 op_sel_hi:[0,1,0] neg_lo:[1,0,0] neg_hi:[1,0,0]
	v_cmp_gt_f32_e32 vcc, 0, v82
	v_cmp_gt_f32_e64 s[12:13], 0, v83
	v_cmp_lt_f32_e64 s[0:1], v82, v75
	v_cndmask_b32_e32 v84, 0, v87, vcc
	v_cndmask_b32_e64 v85, 0, v87, s[12:13]
	v_pk_fma_f32 v[80:81], v[80:81], v[84:85], v[92:93]
	v_pk_fma_f32 v[84:85], v[74:75], v[82:83], 1.0 op_sel_hi:[0,1,0] neg_lo:[1,0,0] neg_hi:[1,0,0]
	v_cmp_lt_f32_e64 s[16:17], v83, v75
	v_cndmask_b32_e64 v85, v85, 1.0, s[12:13]
	v_cndmask_b32_e64 v84, v84, 1.0, vcc
	v_cndmask_b32_e64 v75, 0, 1.0, s[16:17]
	v_cndmask_b32_e64 v74, 0, 1.0, s[0:1]
	v_pk_mul_f32 v[74:75], v[74:75], v[84:85]
	v_cmp_lt_f32_e64 s[0:1], v83, v5
	v_pk_mul_f32 v[74:75], v[78:79], v[74:75] op_sel_hi:[0,1]
	v_cmp_lt_f32_e64 s[16:17], v82, v5
	v_cndmask_b32_e64 v75, v75, -|v75|, s[34:35]
	v_cndmask_b32_e64 v74, v74, -|v74|, s[34:35]
	s_and_b64 s[16:17], s[10:11], s[16:17]
	s_and_b64 s[0:1], s[10:11], s[0:1]
	v_pk_fma_f32 v[74:75], v[74:75], s[28:29], v[80:81] op_sel_hi:[1,0,1]
	v_pk_fma_f32 v[76:77], v[76:77], v[82:83], 1.0 op_sel_hi:[0,1,0] neg_lo:[1,0,0] neg_hi:[1,0,0]
	v_cndmask_b32_e64 v81, 0, 1.0, s[0:1]
	v_cndmask_b32_e64 v80, 0, 1.0, s[16:17]
	s_add_u32 s30, s30, 16
	v_pk_mul_f32 v[80:81], v[116:117], v[80:81] op_sel_hi:[0,1]
	v_cndmask_b32_e64 v77, v77, 1.0, s[12:13]
	v_cndmask_b32_e64 v76, v76, 1.0, vcc
	s_addc_u32 s31, s31, 0
	s_add_i32 s40, s40, -1
	v_pk_fma_f32 v[92:93], v[76:77], v[80:81], v[74:75]
	s_cmp_lg_u32 s40, 0
	s_cbranch_scc1 .LBB5_28
; %bb.29:                               ;   in Loop: Header=BB5_27 Depth=1
	s_add_i32 s26, s26, 1
	s_cmp_lg_u32 s26, s36
	s_cbranch_scc1 .LBB5_27
; %bb.30:
	scratch_store_dwordx4 off, v[58:61], off
	scratch_store_dwordx4 off, v[40:43], off offset:16
	scratch_store_dwordx4 off, v[34:37], off offset:32
	;; [unrolled: 1-line block ×7, first 2 shown]
	s_and_saveexec_b64 s[0:1], s[14:15]
	s_cbranch_execz .LBB5_32
; %bb.31:
	scratch_load_dwordx2 v[38:39], off, off offset:3840 ; 8-byte Folded Reload
	scratch_load_dwordx4 v[0:3], off, off offset:76
	scratch_load_dwordx4 v[4:7], off, off offset:92
	;; [unrolled: 1-line block ×3, first 2 shown]
	scratch_load_dword v33, off, off offset:124
	s_waitcnt vmcnt(4)
	v_mov_b32_e32 v39, 0
	v_mul_f32_e32 v14, 0.5, v58
	v_mul_f32_e32 v15, 0.5, v59
	;; [unrolled: 1-line block ×19, first 2 shown]
	v_lshl_add_u64 v[12:13], v[38:39], 2, s[20:21]
	v_add_u32_e32 v38, s33, v38
	global_store_dword v[12:13], v14, off
	v_lshl_add_u64 v[12:13], v[38:39], 2, s[20:21]
	v_add_u32_e32 v38, s33, v38
	global_store_dword v[12:13], v15, off
	;; [unrolled: 3-line block ×19, first 2 shown]
	s_waitcnt vmcnt(22)
	v_mul_f32_e32 v0, 0.5, v0
	v_lshl_add_u64 v[12:13], v[38:39], 2, s[20:21]
	v_add_u32_e32 v38, s33, v38
	global_store_dword v[12:13], v0, off
	v_mul_f32_e32 v12, 0.5, v1
	v_lshl_add_u64 v[0:1], v[38:39], 2, s[20:21]
	v_add_u32_e32 v38, s33, v38
	global_store_dword v[0:1], v12, off
	v_mul_f32_e32 v2, 0.5, v2
	v_lshl_add_u64 v[0:1], v[38:39], 2, s[20:21]
	v_add_u32_e32 v38, s33, v38
	global_store_dword v[0:1], v2, off
	v_mul_f32_e32 v2, 0.5, v3
	v_lshl_add_u64 v[0:1], v[38:39], 2, s[20:21]
	v_add_u32_e32 v38, s33, v38
	global_store_dword v[0:1], v2, off
	s_waitcnt vmcnt(25)
	v_mul_f32_e32 v2, 0.5, v4
	v_lshl_add_u64 v[0:1], v[38:39], 2, s[20:21]
	v_add_u32_e32 v38, s33, v38
	global_store_dword v[0:1], v2, off
	v_mul_f32_e32 v2, 0.5, v5
	v_lshl_add_u64 v[0:1], v[38:39], 2, s[20:21]
	v_add_u32_e32 v38, s33, v38
	global_store_dword v[0:1], v2, off
	v_mul_f32_e32 v2, 0.5, v6
	v_lshl_add_u64 v[0:1], v[38:39], 2, s[20:21]
	v_add_u32_e32 v38, s33, v38
	global_store_dword v[0:1], v2, off
	v_mul_f32_e32 v2, 0.5, v7
	v_lshl_add_u64 v[0:1], v[38:39], 2, s[20:21]
	v_add_u32_e32 v38, s33, v38
	global_store_dword v[0:1], v2, off
	;; [unrolled: 17-line block ×3, first 2 shown]
	s_waitcnt vmcnt(31)
	v_mul_f32_e32 v2, 0.5, v33
	v_lshl_add_u64 v[0:1], v[38:39], 2, s[20:21]
	global_store_dword v[0:1], v2, off
.LBB5_32:
	s_endpgm
	.section	.rodata,"a",@progbits
	.p2align	6, 0x0
	.amdhsa_kernel _ZL11fasten_mainILm32EEviiPK4AtomS2_PKfS4_S4_S4_S4_S4_PfPK8FFParamsi
		.amdhsa_group_segment_fixed_size 0
		.amdhsa_private_segment_fixed_size 3856
		.amdhsa_kernarg_size 352
		.amdhsa_user_sgpr_count 2
		.amdhsa_user_sgpr_dispatch_ptr 0
		.amdhsa_user_sgpr_queue_ptr 0
		.amdhsa_user_sgpr_kernarg_segment_ptr 1
		.amdhsa_user_sgpr_dispatch_id 0
		.amdhsa_user_sgpr_kernarg_preload_length 0
		.amdhsa_user_sgpr_kernarg_preload_offset 0
		.amdhsa_user_sgpr_private_segment_size 0
		.amdhsa_uses_dynamic_stack 0
		.amdhsa_enable_private_segment 1
		.amdhsa_system_sgpr_workgroup_id_x 1
		.amdhsa_system_sgpr_workgroup_id_y 0
		.amdhsa_system_sgpr_workgroup_id_z 0
		.amdhsa_system_sgpr_workgroup_info 0
		.amdhsa_system_vgpr_workitem_id 0
		.amdhsa_next_free_vgpr 128
		.amdhsa_next_free_sgpr 49
		.amdhsa_accum_offset 128
		.amdhsa_reserve_vcc 1
		.amdhsa_float_round_mode_32 0
		.amdhsa_float_round_mode_16_64 0
		.amdhsa_float_denorm_mode_32 3
		.amdhsa_float_denorm_mode_16_64 3
		.amdhsa_dx10_clamp 1
		.amdhsa_ieee_mode 1
		.amdhsa_fp16_overflow 0
		.amdhsa_tg_split 0
		.amdhsa_exception_fp_ieee_invalid_op 0
		.amdhsa_exception_fp_denorm_src 0
		.amdhsa_exception_fp_ieee_div_zero 0
		.amdhsa_exception_fp_ieee_overflow 0
		.amdhsa_exception_fp_ieee_underflow 0
		.amdhsa_exception_fp_ieee_inexact 0
		.amdhsa_exception_int_div_zero 0
	.end_amdhsa_kernel
	.section	.text._ZL11fasten_mainILm32EEviiPK4AtomS2_PKfS4_S4_S4_S4_S4_PfPK8FFParamsi,"axG",@progbits,_ZL11fasten_mainILm32EEviiPK4AtomS2_PKfS4_S4_S4_S4_S4_PfPK8FFParamsi,comdat
.Lfunc_end5:
	.size	_ZL11fasten_mainILm32EEviiPK4AtomS2_PKfS4_S4_S4_S4_S4_PfPK8FFParamsi, .Lfunc_end5-_ZL11fasten_mainILm32EEviiPK4AtomS2_PKfS4_S4_S4_S4_S4_PfPK8FFParamsi
                                        ; -- End function
	.set _ZL11fasten_mainILm32EEviiPK4AtomS2_PKfS4_S4_S4_S4_S4_PfPK8FFParamsi.num_vgpr, 128
	.set _ZL11fasten_mainILm32EEviiPK4AtomS2_PKfS4_S4_S4_S4_S4_PfPK8FFParamsi.num_agpr, 0
	.set _ZL11fasten_mainILm32EEviiPK4AtomS2_PKfS4_S4_S4_S4_S4_PfPK8FFParamsi.numbered_sgpr, 49
	.set _ZL11fasten_mainILm32EEviiPK4AtomS2_PKfS4_S4_S4_S4_S4_PfPK8FFParamsi.num_named_barrier, 0
	.set _ZL11fasten_mainILm32EEviiPK4AtomS2_PKfS4_S4_S4_S4_S4_PfPK8FFParamsi.private_seg_size, 3856
	.set _ZL11fasten_mainILm32EEviiPK4AtomS2_PKfS4_S4_S4_S4_S4_PfPK8FFParamsi.uses_vcc, 1
	.set _ZL11fasten_mainILm32EEviiPK4AtomS2_PKfS4_S4_S4_S4_S4_PfPK8FFParamsi.uses_flat_scratch, 0
	.set _ZL11fasten_mainILm32EEviiPK4AtomS2_PKfS4_S4_S4_S4_S4_PfPK8FFParamsi.has_dyn_sized_stack, 0
	.set _ZL11fasten_mainILm32EEviiPK4AtomS2_PKfS4_S4_S4_S4_S4_PfPK8FFParamsi.has_recursion, 0
	.set _ZL11fasten_mainILm32EEviiPK4AtomS2_PKfS4_S4_S4_S4_S4_PfPK8FFParamsi.has_indirect_call, 0
	.section	.AMDGPU.csdata,"",@progbits
; Kernel info:
; codeLenInByte = 21392
; TotalNumSgprs: 55
; NumVgprs: 128
; NumAgprs: 0
; TotalNumVgprs: 128
; ScratchSize: 3856
; MemoryBound: 0
; FloatMode: 240
; IeeeMode: 1
; LDSByteSize: 0 bytes/workgroup (compile time only)
; SGPRBlocks: 6
; VGPRBlocks: 15
; NumSGPRsForWavesPerEU: 55
; NumVGPRsForWavesPerEU: 128
; AccumOffset: 128
; Occupancy: 4
; WaveLimiterHint : 1
; COMPUTE_PGM_RSRC2:SCRATCH_EN: 1
; COMPUTE_PGM_RSRC2:USER_SGPR: 2
; COMPUTE_PGM_RSRC2:TRAP_HANDLER: 0
; COMPUTE_PGM_RSRC2:TGID_X_EN: 1
; COMPUTE_PGM_RSRC2:TGID_Y_EN: 0
; COMPUTE_PGM_RSRC2:TGID_Z_EN: 0
; COMPUTE_PGM_RSRC2:TIDIG_COMP_CNT: 0
; COMPUTE_PGM_RSRC3_GFX90A:ACCUM_OFFSET: 31
; COMPUTE_PGM_RSRC3_GFX90A:TG_SPLIT: 0
	.section	.text._ZL11fasten_mainILm64EEviiPK4AtomS2_PKfS4_S4_S4_S4_S4_PfPK8FFParamsi,"axG",@progbits,_ZL11fasten_mainILm64EEviiPK4AtomS2_PKfS4_S4_S4_S4_S4_PfPK8FFParamsi,comdat
	.globl	_ZL11fasten_mainILm64EEviiPK4AtomS2_PKfS4_S4_S4_S4_S4_PfPK8FFParamsi ; -- Begin function _ZL11fasten_mainILm64EEviiPK4AtomS2_PKfS4_S4_S4_S4_S4_PfPK8FFParamsi
	.p2align	8
	.type	_ZL11fasten_mainILm64EEviiPK4AtomS2_PKfS4_S4_S4_S4_S4_PfPK8FFParamsi,@function
_ZL11fasten_mainILm64EEviiPK4AtomS2_PKfS4_S4_S4_S4_S4_PfPK8FFParamsi: ; @_ZL11fasten_mainILm64EEviiPK4AtomS2_PKfS4_S4_S4_S4_S4_PfPK8FFParamsi
; %bb.0:
	s_load_dword s3, s[0:1], 0x6c
	s_load_dword s4, s[0:1], 0x58
	s_load_dwordx16 s[16:31], s[0:1], 0x8
	s_mov_b32 s9, 0
	s_mov_b32 s34, 16
	s_waitcnt lgkmcnt(0)
	s_and_b32 s33, s3, 0xffff
	s_mul_i32 s2, s2, s33
	v_lshl_add_u32 v4, s2, 6, v0
	s_sub_i32 s2, s4, 64
	v_mov_b32_e32 v0, s2
	v_cmp_gt_i32_e64 s[14:15], s4, v4
	v_mov_b32_e32 v2, v4
	s_movk_i32 s2, 0x17c4
	v_cndmask_b32_e64 v0, v0, v4, s[14:15]
	v_ashrrev_i32_e32 v1, 31, v0
	scratch_store_dwordx2 off, v[2:3], s2   ; 8-byte Folded Spill
	v_lshlrev_b64 v[0:1], 2, v[0:1]
	s_lshl_b32 s8, s33, 2
	s_brev_b32 s35, 18
	s_mov_b32 s36, 0xfe5163ab
	v_mov_b32_e32 v3, 0
	s_mov_b32 s37, 0x3c439041
	s_mov_b32 s38, 0xdb629599
	s_mov_b32 s39, 0xf534ddc0
	s_mov_b32 s40, 0xfc2757d1
	s_mov_b32 s41, 0x4e441529
	s_mov_b32 s42, 0xa2f9836e
	s_mov_b32 s43, 0x3fc90fda
	s_mov_b32 s44, 0x3f22f983
	s_mov_b32 s45, 0xbfc90fda
	v_mov_b32_e32 v5, 0x3c0881c4
	v_mov_b32_e32 v6, 0xbab64f3b
	s_brev_b32 s46, 1
	s_movk_i32 s47, 0x1f8
	v_not_b32_e32 v7, 63
	v_not_b32_e32 v8, 31
	v_mov_b32_e32 v9, 0x7fc00000
	s_mov_b32 s48, s9
                                        ; implicit-def: $vgpr2
                                        ; implicit-def: $vgpr2
	;; [unrolled: 1-line block ×3, first 2 shown]
	s_branch .LBB6_2
.LBB6_1:                                ;   in Loop: Header=BB6_2 Depth=1
	s_or_b64 exec, exec, s[2:3]
	v_mul_f32_e32 v2, v26, v26
	v_fmamk_f32 v27, v2, 0xb94c1982, v5
	v_fmaak_f32 v27, v2, v27, 0xbe2aaa9d
	v_mul_f32_e32 v27, v2, v27
	v_fmac_f32_e32 v26, v26, v27
	v_fmamk_f32 v27, v2, 0x37d75334, v6
	v_fmaak_f32 v27, v2, v27, 0x3d2aabf7
	v_fmaak_f32 v27, v2, v27, 0xbf000004
	v_fma_f32 v2, v2, v27, 1.0
	v_and_b32_e32 v27, 1, v25
	v_lshlrev_b32_e32 v25, 30, v25
	v_cmp_eq_u32_e32 vcc, 0, v27
	v_and_b32_e32 v25, 0x80000000, v25
	v_xor_b32_e32 v22, v22, v21
	v_cndmask_b32_e32 v2, v2, v26, vcc
	v_xor_b32_e32 v22, v22, v25
	v_cmp_class_f32_e64 vcc, v21, s47
	v_mul_f32_e32 v21, v20, v20
	v_xor_b32_e32 v2, v22, v2
	v_fmamk_f32 v22, v21, 0xb94c1982, v5
	v_fmaak_f32 v22, v21, v22, 0xbe2aaa9d
	v_mul_f32_e32 v22, v21, v22
	v_fmac_f32_e32 v20, v20, v22
	v_fmamk_f32 v22, v21, 0x37d75334, v6
	v_fmaak_f32 v22, v21, v22, 0x3d2aabf7
	v_fmaak_f32 v22, v21, v22, 0xbf000004
	v_fma_f32 v21, v21, v22, 1.0
	v_and_b32_e32 v22, 1, v4
	v_cmp_eq_u32_e64 s[2:3], 0, v22
	v_lshlrev_b32_e32 v4, 30, v4
	v_lshl_add_u64 v[26:27], s[28:29], 0, v[0:1]
	v_cndmask_b32_e64 v20, -v20, v21, s[2:3]
	v_bitop3_b32 v4, v4, v20, s46 bitop3:0x6c
	v_lshl_add_u64 v[20:21], s[26:27], 0, v[0:1]
	global_load_dword v21, v[20:21], off
	v_mul_f32_e32 v20, v19, v19
	global_load_dword v25, v[26:27], off
	v_lshl_add_u64 v[26:27], s[30:31], 0, v[0:1]
	global_load_dword v27, v[26:27], off
	v_fmamk_f32 v22, v20, 0xb94c1982, v5
	v_fmaak_f32 v22, v20, v22, 0xbe2aaa9d
	v_mul_f32_e32 v22, v20, v22
	v_fmac_f32_e32 v19, v19, v22
	v_fmamk_f32 v22, v20, 0x37d75334, v6
	v_fmaak_f32 v22, v20, v22, 0x3d2aabf7
	v_fmaak_f32 v22, v20, v22, 0xbf000004
	v_fma_f32 v20, v20, v22, 1.0
	v_and_b32_e32 v22, 1, v18
	v_lshlrev_b32_e32 v18, 30, v18
	v_cmp_class_f32_e64 s[2:3], v16, s47
	v_and_b32_e32 v18, 0x80000000, v18
	v_xor_b32_e32 v16, v17, v16
	v_mul_f32_e32 v17, v15, v15
	v_xor_b32_e32 v16, v16, v18
	v_fmamk_f32 v18, v17, 0xb94c1982, v5
	v_fmaak_f32 v18, v17, v18, 0xbe2aaa9d
	v_mul_f32_e32 v18, v17, v18
	v_fmac_f32_e32 v15, v15, v18
	v_fmamk_f32 v18, v17, 0x37d75334, v6
	v_cmp_eq_u32_e64 s[4:5], 0, v22
	v_fmaak_f32 v18, v17, v18, 0x3d2aabf7
	v_fmaak_f32 v18, v17, v18, 0xbf000004
	v_cndmask_b32_e64 v19, v20, v19, s[4:5]
	v_xor_b32_e32 v16, v16, v19
	v_fma_f32 v17, v17, v18, 1.0
	v_and_b32_e32 v18, 1, v14
	v_cndmask_b32_e64 v4, v9, v4, s[2:3]
	v_cndmask_b32_e64 v16, v9, v16, s[2:3]
	v_cmp_eq_u32_e64 s[2:3], 0, v18
	v_lshlrev_b32_e32 v14, 30, v14
	v_cndmask_b32_e32 v2, v9, v2, vcc
	v_cndmask_b32_e64 v15, -v15, v17, s[2:3]
	v_bitop3_b32 v14, v14, v15, s46 bitop3:0x6c
	v_cmp_class_f32_e64 s[2:3], v10, s47
	v_xor_b32_e32 v10, v11, v10
	v_lshl_add_u64 v[0:1], v[0:1], 0, s[8:9]
	v_cndmask_b32_e64 v15, v9, v14, s[2:3]
	v_mul_f32_e32 v14, v13, v13
	v_fmamk_f32 v17, v14, 0xb94c1982, v5
	v_fmaak_f32 v17, v14, v17, 0xbe2aaa9d
	v_mul_f32_e32 v17, v14, v17
	v_fmac_f32_e32 v13, v13, v17
	v_fmamk_f32 v17, v14, 0x37d75334, v6
	v_fmaak_f32 v17, v14, v17, 0x3d2aabf7
	v_fmaak_f32 v17, v14, v17, 0xbf000004
	v_fma_f32 v14, v14, v17, 1.0
	v_and_b32_e32 v17, 1, v12
	v_lshlrev_b32_e32 v12, 30, v12
	v_cmp_eq_u32_e64 s[4:5], 0, v17
	v_and_b32_e32 v12, 0x80000000, v12
	v_xor_b32_e32 v10, v10, v12
	v_cndmask_b32_e64 v13, v14, v13, s[4:5]
	v_xor_b32_e32 v10, v10, v13
	v_cndmask_b32_e64 v14, v9, v10, s[2:3]
	v_mul_f32_e32 v10, v24, v24
	v_fmamk_f32 v11, v10, 0xb94c1982, v5
	v_fmaak_f32 v11, v10, v11, 0xbe2aaa9d
	v_mul_f32_e32 v11, v10, v11
	v_fmac_f32_e32 v24, v24, v11
	v_fmamk_f32 v11, v10, 0x37d75334, v6
	v_fmaak_f32 v11, v10, v11, 0x3d2aabf7
	v_fmaak_f32 v11, v10, v11, 0xbf000004
	v_fma_f32 v10, v10, v11, 1.0
	v_and_b32_e32 v11, 1, v23
	v_cmp_eq_u32_e64 s[2:3], 0, v11
	v_lshlrev_b32_e32 v11, 30, v23
	v_pk_mul_f32 v[12:13], v[14:15], v[16:17] op_sel_hi:[1,0]
	v_cndmask_b32_e64 v10, -v24, v10, s[2:3]
	v_bitop3_b32 v10, v11, v10, s46 bitop3:0x6c
	v_cndmask_b32_e32 v10, v9, v10, vcc
	v_pk_mul_f32 v[22:23], v[14:15], v[2:3] op_sel_hi:[1,0]
	v_pk_mul_f32 v[28:29], v[12:13], v[10:11] op_sel_hi:[1,0]
	v_pk_fma_f32 v[30:31], v[12:13], v[10:11], v[22:23] op_sel:[0,0,1] op_sel_hi:[1,0,0]
	v_mul_f32_e32 v18, v4, v10
	s_add_i32 s2, s48, 0x110
	v_sub_f32_e32 v19, v28, v23
	v_mov_b32_e32 v20, v31
	s_waitcnt vmcnt(2)
	scratch_store_dwordx4 off, v[18:21], s2
	v_mul_f32_e32 v22, v4, v2
	s_add_i32 s3, s2, 16
	v_mov_b32_e32 v20, v15
	v_mov_b32_e32 v21, v14
	v_pk_mul_f32 v[10:11], v[20:21], v[10:11] op_sel_hi:[1,0]
	v_pk_mul_f32 v[18:19], v[12:13], v[2:3] op_sel_hi:[1,0]
	v_pk_fma_f32 v[12:13], v[12:13], v[2:3], v[10:11] op_sel_hi:[1,0,1] neg_lo:[0,0,1] neg_hi:[0,0,1]
	v_add_f32_e32 v23, v18, v10
	v_mov_b32_e32 v24, v13
	v_pk_mul_f32 v[10:11], v[14:15], v[4:5] op_sel_hi:[1,0]
	s_waitcnt vmcnt(2)
	scratch_store_dwordx4 off, v[22:25], s3
	s_add_i32 s2, s2, 32
	v_mov_b32_e32 v26, v11
	v_xor_b32_e32 v24, 0x80000000, v16
	v_mov_b32_e32 v25, v10
	s_waitcnt vmcnt(2)
	scratch_store_dwordx4 off, v[24:27], s2
	scratch_store_dword off, v3, s34
	s_add_i32 s48, s48, 48
	s_add_i32 s34, s34, 4
	s_cmpk_lg_i32 s48, 0xc00
	s_cbranch_scc0 .LBB6_26
.LBB6_2:                                ; =>This Inner Loop Header: Depth=1
	v_lshl_add_u64 v[10:11], s[20:21], 0, v[0:1]
	global_load_dword v10, v[10:11], off
                                        ; implicit-def: $vgpr12
                                        ; implicit-def: $vgpr13
	s_waitcnt vmcnt(0)
	v_and_b32_e32 v11, 0x7fffffff, v10
	v_lshrrev_b32_e32 v2, 23, v11
	v_and_b32_e32 v4, 0x7fffff, v11
	v_cmp_nlt_f32_e64 s[10:11], |v10|, s35
	v_add_u32_e32 v16, 0xffffff88, v2
	v_or_b32_e32 v4, 0x800000, v4
	s_and_saveexec_b64 s[2:3], s[10:11]
	s_xor_b64 s[12:13], exec, s[2:3]
	s_cbranch_execz .LBB6_4
; %bb.3:                                ;   in Loop: Header=BB6_2 Depth=1
	v_cmp_lt_u32_e32 vcc, 63, v16
	s_nop 1
	v_cndmask_b32_e32 v2, 0, v7, vcc
	v_add_u32_e32 v2, v2, v16
	v_cmp_lt_u32_e64 s[2:3], 31, v2
	s_nop 1
	v_cndmask_b32_e64 v12, 0, v8, s[2:3]
	v_add_u32_e32 v2, v12, v2
	v_cmp_lt_u32_e64 s[4:5], 31, v2
	s_nop 1
	v_cndmask_b32_e64 v12, 0, v8, s[4:5]
	v_add_u32_e32 v17, v12, v2
	v_mad_u64_u32 v[12:13], s[6:7], v4, s36, 0
	v_mov_b32_e32 v2, v13
	v_mad_u64_u32 v[14:15], s[6:7], v4, s37, v[2:3]
	v_mov_b32_e32 v2, v15
	;; [unrolled: 2-line block ×6, first 2 shown]
	v_mad_u64_u32 v[26:27], s[6:7], v4, s42, v[2:3]
	v_cndmask_b32_e32 v13, v24, v20, vcc
	v_cndmask_b32_e32 v2, v26, v22, vcc
	v_cndmask_b32_e32 v19, v27, v24, vcc
	v_cndmask_b32_e64 v15, v2, v13, s[2:3]
	v_cndmask_b32_e64 v2, v19, v2, s[2:3]
	v_cndmask_b32_e32 v19, v22, v18, vcc
	v_cndmask_b32_e64 v13, v13, v19, s[2:3]
	v_cndmask_b32_e32 v14, v20, v14, vcc
	v_cndmask_b32_e64 v2, v2, v15, s[4:5]
	v_cndmask_b32_e64 v15, v15, v13, s[4:5]
	v_sub_u32_e32 v21, 32, v17
	v_cmp_eq_u32_e64 s[6:7], 0, v17
	v_cndmask_b32_e64 v17, v19, v14, s[2:3]
	v_alignbit_b32 v22, v2, v15, v21
	v_cndmask_b32_e64 v13, v13, v17, s[4:5]
	v_cndmask_b32_e32 v12, v18, v12, vcc
	v_cndmask_b32_e64 v2, v22, v2, s[6:7]
	v_alignbit_b32 v19, v15, v13, v21
	v_cndmask_b32_e64 v12, v14, v12, s[2:3]
	v_cndmask_b32_e64 v15, v19, v15, s[6:7]
	v_bfe_u32 v22, v2, 29, 1
	v_cndmask_b32_e64 v12, v17, v12, s[4:5]
	v_alignbit_b32 v19, v2, v15, 30
	v_sub_u32_e32 v23, 0, v22
	v_alignbit_b32 v14, v13, v12, v21
	v_xor_b32_e32 v19, v19, v23
	v_cndmask_b32_e64 v13, v14, v13, s[6:7]
	v_alignbit_b32 v14, v15, v13, 30
	v_ffbh_u32_e32 v15, v19
	v_min_u32_e32 v15, 32, v15
	v_alignbit_b32 v12, v13, v12, 30
	v_xor_b32_e32 v14, v14, v23
	v_sub_u32_e32 v17, 31, v15
	v_xor_b32_e32 v12, v12, v23
	v_alignbit_b32 v18, v19, v14, v17
	v_alignbit_b32 v12, v14, v12, v17
	;; [unrolled: 1-line block ×3, first 2 shown]
	v_ffbh_u32_e32 v14, v13
	v_min_u32_e32 v14, 32, v14
	v_lshrrev_b32_e32 v20, 29, v2
	v_not_b32_e32 v17, v14
	v_alignbit_b32 v12, v13, v12, v17
	v_lshlrev_b32_e32 v13, 31, v20
	v_or_b32_e32 v17, 0x33000000, v13
	v_add_lshl_u32 v14, v14, v15, 23
	v_lshrrev_b32_e32 v12, 9, v12
	v_sub_u32_e32 v14, v17, v14
	v_or_b32_e32 v13, 0.5, v13
	v_lshlrev_b32_e32 v15, 23, v15
	v_or_b32_e32 v12, v14, v12
	v_lshrrev_b32_e32 v14, 9, v18
	v_sub_u32_e32 v13, v13, v15
	v_or_b32_e32 v13, v14, v13
	v_mul_f32_e32 v14, 0x3fc90fda, v13
	v_fma_f32 v15, v13, s43, -v14
	v_fmac_f32_e32 v15, 0x33a22168, v13
	v_fmac_f32_e32 v15, 0x3fc90fda, v12
	v_lshrrev_b32_e32 v2, 30, v2
	v_add_f32_e32 v13, v14, v15
	v_add_u32_e32 v12, v22, v2
.LBB6_4:                                ;   in Loop: Header=BB6_2 Depth=1
	s_or_saveexec_b64 s[2:3], s[12:13]
	v_mul_f32_e64 v2, |v10|, s44
	v_rndne_f32_e32 v2, v2
	s_xor_b64 exec, exec, s[2:3]
; %bb.5:                                ;   in Loop: Header=BB6_2 Depth=1
	v_cvt_i32_f32_e32 v12, v2
	v_fma_f32 v13, v2, s45, |v10|
	v_fmac_f32_e32 v13, 0xb3a22168, v2
	v_fmac_f32_e32 v13, 0xa7c234c4, v2
; %bb.6:                                ;   in Loop: Header=BB6_2 Depth=1
	s_or_b64 exec, exec, s[2:3]
                                        ; implicit-def: $vgpr14
                                        ; implicit-def: $vgpr15
	s_and_saveexec_b64 s[2:3], s[10:11]
	s_xor_b64 s[10:11], exec, s[2:3]
	s_cbranch_execz .LBB6_8
; %bb.7:                                ;   in Loop: Header=BB6_2 Depth=1
	v_cmp_lt_u32_e32 vcc, 63, v16
	s_nop 1
	v_cndmask_b32_e32 v2, 0, v7, vcc
	v_add_u32_e32 v2, v2, v16
	v_cmp_lt_u32_e64 s[2:3], 31, v2
	s_nop 1
	v_cndmask_b32_e64 v14, 0, v8, s[2:3]
	v_add_u32_e32 v2, v14, v2
	v_cmp_lt_u32_e64 s[4:5], 31, v2
	s_nop 1
	v_cndmask_b32_e64 v14, 0, v8, s[4:5]
	v_add_u32_e32 v28, v14, v2
	v_mad_u64_u32 v[14:15], s[6:7], v4, s36, 0
	v_mov_b32_e32 v2, v15
	v_mad_u64_u32 v[16:17], s[6:7], v4, s37, v[2:3]
	v_mov_b32_e32 v2, v17
	;; [unrolled: 2-line block ×6, first 2 shown]
	v_mad_u64_u32 v[26:27], s[6:7], v4, s42, v[2:3]
	v_cndmask_b32_e32 v15, v24, v20, vcc
	v_cndmask_b32_e32 v2, v26, v22, vcc
	;; [unrolled: 1-line block ×3, first 2 shown]
	v_cndmask_b32_e64 v4, v2, v15, s[2:3]
	v_cndmask_b32_e64 v2, v17, v2, s[2:3]
	v_cndmask_b32_e32 v17, v22, v18, vcc
	v_cndmask_b32_e64 v15, v15, v17, s[2:3]
	v_cndmask_b32_e32 v16, v20, v16, vcc
	v_cndmask_b32_e64 v2, v2, v4, s[4:5]
	v_cndmask_b32_e64 v4, v4, v15, s[4:5]
	v_sub_u32_e32 v19, 32, v28
	v_cndmask_b32_e64 v17, v17, v16, s[2:3]
	v_alignbit_b32 v21, v2, v4, v19
	v_cmp_eq_u32_e64 s[6:7], 0, v28
	v_cndmask_b32_e64 v15, v15, v17, s[4:5]
	v_alignbit_b32 v20, v4, v15, v19
	v_cndmask_b32_e64 v2, v21, v2, s[6:7]
	v_cndmask_b32_e32 v14, v18, v14, vcc
	v_cndmask_b32_e64 v4, v20, v4, s[6:7]
	v_bfe_u32 v22, v2, 29, 1
	v_cndmask_b32_e64 v14, v16, v14, s[2:3]
	v_alignbit_b32 v20, v2, v4, 30
	v_sub_u32_e32 v23, 0, v22
	v_cndmask_b32_e64 v14, v17, v14, s[4:5]
	v_xor_b32_e32 v20, v20, v23
	v_alignbit_b32 v16, v15, v14, v19
	v_cndmask_b32_e64 v15, v16, v15, s[6:7]
	v_ffbh_u32_e32 v16, v20
	v_alignbit_b32 v4, v4, v15, 30
	v_min_u32_e32 v16, 32, v16
	v_alignbit_b32 v14, v15, v14, 30
	v_xor_b32_e32 v4, v4, v23
	v_sub_u32_e32 v17, 31, v16
	v_xor_b32_e32 v14, v14, v23
	v_alignbit_b32 v18, v20, v4, v17
	v_alignbit_b32 v4, v4, v14, v17
	;; [unrolled: 1-line block ×3, first 2 shown]
	v_ffbh_u32_e32 v15, v14
	v_min_u32_e32 v15, 32, v15
	v_lshrrev_b32_e32 v21, 29, v2
	v_not_b32_e32 v17, v15
	v_alignbit_b32 v4, v14, v4, v17
	v_lshlrev_b32_e32 v14, 31, v21
	v_or_b32_e32 v17, 0x33000000, v14
	v_add_lshl_u32 v15, v15, v16, 23
	v_lshrrev_b32_e32 v4, 9, v4
	v_sub_u32_e32 v15, v17, v15
	v_or_b32_e32 v14, 0.5, v14
	v_lshlrev_b32_e32 v16, 23, v16
	v_or_b32_e32 v4, v15, v4
	v_lshrrev_b32_e32 v15, 9, v18
	v_sub_u32_e32 v14, v14, v16
	v_or_b32_e32 v14, v15, v14
	v_mul_f32_e32 v15, 0x3fc90fda, v14
	v_fma_f32 v16, v14, s43, -v15
	v_fmac_f32_e32 v16, 0x33a22168, v14
	v_fmac_f32_e32 v16, 0x3fc90fda, v4
	v_lshrrev_b32_e32 v2, 30, v2
	v_add_f32_e32 v15, v15, v16
	v_add_u32_e32 v14, v22, v2
                                        ; implicit-def: $vgpr2
	s_andn2_saveexec_b64 s[2:3], s[10:11]
	s_cbranch_execnz .LBB6_9
	s_branch .LBB6_10
.LBB6_8:                                ;   in Loop: Header=BB6_2 Depth=1
	s_andn2_saveexec_b64 s[2:3], s[10:11]
.LBB6_9:                                ;   in Loop: Header=BB6_2 Depth=1
	v_cvt_i32_f32_e32 v14, v2
	v_fma_f32 v15, v2, s45, |v10|
	v_fmac_f32_e32 v15, 0xb3a22168, v2
	v_fmac_f32_e32 v15, 0xa7c234c4, v2
.LBB6_10:                               ;   in Loop: Header=BB6_2 Depth=1
	s_or_b64 exec, exec, s[2:3]
	v_lshl_add_u64 v[16:17], s[22:23], 0, v[0:1]
	global_load_dword v16, v[16:17], off
                                        ; implicit-def: $vgpr18
                                        ; implicit-def: $vgpr19
	s_waitcnt vmcnt(0)
	v_and_b32_e32 v17, 0x7fffffff, v16
	v_lshrrev_b32_e32 v2, 23, v17
	v_and_b32_e32 v4, 0x7fffff, v17
	v_cmp_nlt_f32_e64 s[10:11], |v16|, s35
	v_add_u32_e32 v22, 0xffffff88, v2
	v_or_b32_e32 v21, 0x800000, v4
	s_and_saveexec_b64 s[2:3], s[10:11]
	s_xor_b64 s[12:13], exec, s[2:3]
	s_cbranch_execz .LBB6_12
; %bb.11:                               ;   in Loop: Header=BB6_2 Depth=1
	v_cmp_lt_u32_e32 vcc, 63, v22
	v_mad_u64_u32 v[18:19], s[6:7], v21, s36, 0
	s_nop 0
	v_cndmask_b32_e32 v2, 0, v7, vcc
	v_add_u32_e32 v2, v2, v22
	v_cmp_lt_u32_e64 s[2:3], 31, v2
	s_nop 1
	v_cndmask_b32_e64 v4, 0, v8, s[2:3]
	v_add_u32_e32 v2, v4, v2
	v_cmp_lt_u32_e64 s[4:5], 31, v2
	s_nop 1
	v_cndmask_b32_e64 v4, 0, v8, s[4:5]
	v_add_u32_e32 v4, v4, v2
	v_mov_b32_e32 v2, v19
	v_mad_u64_u32 v[24:25], s[6:7], v21, s37, v[2:3]
	v_mov_b32_e32 v2, v25
	v_mad_u64_u32 v[26:27], s[6:7], v21, s38, v[2:3]
	;; [unrolled: 2-line block ×6, first 2 shown]
	v_cndmask_b32_e32 v19, v32, v28, vcc
	v_cndmask_b32_e32 v2, v34, v30, vcc
	;; [unrolled: 1-line block ×3, first 2 shown]
	v_cndmask_b32_e64 v20, v2, v19, s[2:3]
	v_cndmask_b32_e64 v2, v23, v2, s[2:3]
	v_cndmask_b32_e32 v23, v30, v26, vcc
	v_cndmask_b32_e64 v19, v19, v23, s[2:3]
	v_sub_u32_e32 v25, 32, v4
	v_cmp_eq_u32_e64 s[6:7], 0, v4
	v_cndmask_b32_e32 v4, v28, v24, vcc
	v_cndmask_b32_e64 v2, v2, v20, s[4:5]
	v_cndmask_b32_e64 v20, v20, v19, s[4:5]
	;; [unrolled: 1-line block ×3, first 2 shown]
	v_alignbit_b32 v27, v2, v20, v25
	v_cndmask_b32_e64 v19, v19, v23, s[4:5]
	v_cndmask_b32_e32 v18, v26, v18, vcc
	v_cndmask_b32_e64 v2, v27, v2, s[6:7]
	v_alignbit_b32 v24, v20, v19, v25
	v_cndmask_b32_e64 v4, v4, v18, s[2:3]
	v_cndmask_b32_e64 v20, v24, v20, s[6:7]
	v_bfe_u32 v28, v2, 29, 1
	v_cndmask_b32_e64 v4, v23, v4, s[4:5]
	v_alignbit_b32 v24, v2, v20, 30
	v_sub_u32_e32 v29, 0, v28
	v_alignbit_b32 v18, v19, v4, v25
	v_xor_b32_e32 v24, v24, v29
	v_cndmask_b32_e64 v18, v18, v19, s[6:7]
	v_alignbit_b32 v19, v20, v18, 30
	v_ffbh_u32_e32 v20, v24
	v_min_u32_e32 v20, 32, v20
	v_alignbit_b32 v4, v18, v4, 30
	v_xor_b32_e32 v19, v19, v29
	v_sub_u32_e32 v23, 31, v20
	v_xor_b32_e32 v4, v4, v29
	v_alignbit_b32 v24, v24, v19, v23
	v_alignbit_b32 v4, v19, v4, v23
	;; [unrolled: 1-line block ×3, first 2 shown]
	v_ffbh_u32_e32 v19, v18
	v_min_u32_e32 v19, 32, v19
	v_lshrrev_b32_e32 v27, 29, v2
	v_not_b32_e32 v23, v19
	v_alignbit_b32 v4, v18, v4, v23
	v_lshlrev_b32_e32 v18, 31, v27
	v_or_b32_e32 v23, 0x33000000, v18
	v_add_lshl_u32 v19, v19, v20, 23
	v_lshrrev_b32_e32 v4, 9, v4
	v_sub_u32_e32 v19, v23, v19
	v_or_b32_e32 v18, 0.5, v18
	v_lshlrev_b32_e32 v20, 23, v20
	v_or_b32_e32 v4, v19, v4
	v_lshrrev_b32_e32 v19, 9, v24
	v_sub_u32_e32 v18, v18, v20
	v_or_b32_e32 v18, v19, v18
	v_mul_f32_e32 v19, 0x3fc90fda, v18
	v_fma_f32 v20, v18, s43, -v19
	v_fmac_f32_e32 v20, 0x33a22168, v18
	v_fmac_f32_e32 v20, 0x3fc90fda, v4
	v_lshrrev_b32_e32 v2, 30, v2
	v_add_f32_e32 v19, v19, v20
	v_add_u32_e32 v18, v28, v2
.LBB6_12:                               ;   in Loop: Header=BB6_2 Depth=1
	s_or_saveexec_b64 s[2:3], s[12:13]
	v_mul_f32_e64 v2, |v16|, s44
	v_rndne_f32_e32 v2, v2
	s_xor_b64 exec, exec, s[2:3]
; %bb.13:                               ;   in Loop: Header=BB6_2 Depth=1
	v_cvt_i32_f32_e32 v18, v2
	v_fma_f32 v19, v2, s45, |v16|
	v_fmac_f32_e32 v19, 0xb3a22168, v2
	v_fmac_f32_e32 v19, 0xa7c234c4, v2
; %bb.14:                               ;   in Loop: Header=BB6_2 Depth=1
	s_or_b64 exec, exec, s[2:3]
                                        ; implicit-def: $vgpr4
                                        ; implicit-def: $vgpr20
	s_and_saveexec_b64 s[2:3], s[10:11]
	s_xor_b64 s[10:11], exec, s[2:3]
	s_cbranch_execz .LBB6_16
; %bb.15:                               ;   in Loop: Header=BB6_2 Depth=1
	v_cmp_lt_u32_e32 vcc, 63, v22
	s_nop 1
	v_cndmask_b32_e32 v2, 0, v7, vcc
	v_add_u32_e32 v2, v2, v22
	v_cmp_lt_u32_e64 s[2:3], 31, v2
	v_mad_u64_u32 v[22:23], s[6:7], v21, s36, 0
	s_nop 0
	v_cndmask_b32_e64 v4, 0, v8, s[2:3]
	v_add_u32_e32 v2, v4, v2
	v_cmp_lt_u32_e64 s[4:5], 31, v2
	s_nop 1
	v_cndmask_b32_e64 v4, 0, v8, s[4:5]
	v_add_u32_e32 v4, v4, v2
	v_mov_b32_e32 v2, v23
	v_mad_u64_u32 v[24:25], s[6:7], v21, s37, v[2:3]
	v_mov_b32_e32 v2, v25
	v_mad_u64_u32 v[26:27], s[6:7], v21, s38, v[2:3]
	v_mov_b32_e32 v2, v27
	v_mad_u64_u32 v[28:29], s[6:7], v21, s39, v[2:3]
	v_mov_b32_e32 v2, v29
	v_mad_u64_u32 v[30:31], s[6:7], v21, s40, v[2:3]
	v_mov_b32_e32 v2, v31
	v_mad_u64_u32 v[32:33], s[6:7], v21, s41, v[2:3]
	v_mov_b32_e32 v2, v33
	v_mad_u64_u32 v[20:21], s[6:7], v21, s42, v[2:3]
	v_cndmask_b32_e32 v23, v32, v28, vcc
	v_cndmask_b32_e32 v2, v20, v30, vcc
	;; [unrolled: 1-line block ×3, first 2 shown]
	v_cndmask_b32_e64 v20, v2, v23, s[2:3]
	v_cndmask_b32_e64 v2, v21, v2, s[2:3]
	v_cndmask_b32_e32 v21, v30, v26, vcc
	v_cndmask_b32_e64 v23, v23, v21, s[2:3]
	v_sub_u32_e32 v25, 32, v4
	v_cmp_eq_u32_e64 s[6:7], 0, v4
	v_cndmask_b32_e32 v4, v28, v24, vcc
	v_cndmask_b32_e64 v2, v2, v20, s[4:5]
	v_cndmask_b32_e64 v20, v20, v23, s[4:5]
	;; [unrolled: 1-line block ×3, first 2 shown]
	v_alignbit_b32 v27, v2, v20, v25
	v_cndmask_b32_e64 v23, v23, v21, s[4:5]
	v_cndmask_b32_e64 v2, v27, v2, s[6:7]
	v_alignbit_b32 v24, v20, v23, v25
	v_cndmask_b32_e32 v22, v26, v22, vcc
	v_cndmask_b32_e64 v20, v24, v20, s[6:7]
	v_bfe_u32 v28, v2, 29, 1
	v_cndmask_b32_e64 v4, v4, v22, s[2:3]
	v_alignbit_b32 v24, v2, v20, 30
	v_sub_u32_e32 v29, 0, v28
	v_cndmask_b32_e64 v4, v21, v4, s[4:5]
	v_xor_b32_e32 v24, v24, v29
	v_alignbit_b32 v21, v23, v4, v25
	v_cndmask_b32_e64 v21, v21, v23, s[6:7]
	v_ffbh_u32_e32 v22, v24
	v_alignbit_b32 v20, v20, v21, 30
	v_min_u32_e32 v22, 32, v22
	v_alignbit_b32 v4, v21, v4, 30
	v_xor_b32_e32 v20, v20, v29
	v_sub_u32_e32 v23, 31, v22
	v_xor_b32_e32 v4, v4, v29
	v_alignbit_b32 v24, v24, v20, v23
	v_alignbit_b32 v4, v20, v4, v23
	;; [unrolled: 1-line block ×3, first 2 shown]
	v_ffbh_u32_e32 v21, v20
	v_min_u32_e32 v21, 32, v21
	v_lshrrev_b32_e32 v27, 29, v2
	v_not_b32_e32 v23, v21
	v_alignbit_b32 v4, v20, v4, v23
	v_lshlrev_b32_e32 v20, 31, v27
	v_or_b32_e32 v23, 0x33000000, v20
	v_add_lshl_u32 v21, v21, v22, 23
	v_lshrrev_b32_e32 v4, 9, v4
	v_sub_u32_e32 v21, v23, v21
	v_or_b32_e32 v20, 0.5, v20
	v_lshlrev_b32_e32 v22, 23, v22
	v_or_b32_e32 v4, v21, v4
	v_lshrrev_b32_e32 v21, 9, v24
	v_sub_u32_e32 v20, v20, v22
	v_or_b32_e32 v20, v21, v20
	v_mul_f32_e32 v21, 0x3fc90fda, v20
	v_fma_f32 v22, v20, s43, -v21
	v_fmac_f32_e32 v22, 0x33a22168, v20
	v_fmac_f32_e32 v22, 0x3fc90fda, v4
	v_lshrrev_b32_e32 v2, 30, v2
	v_add_f32_e32 v20, v21, v22
	v_add_u32_e32 v4, v28, v2
                                        ; implicit-def: $vgpr2
	s_andn2_saveexec_b64 s[2:3], s[10:11]
	s_cbranch_execnz .LBB6_17
	s_branch .LBB6_18
.LBB6_16:                               ;   in Loop: Header=BB6_2 Depth=1
	s_andn2_saveexec_b64 s[2:3], s[10:11]
.LBB6_17:                               ;   in Loop: Header=BB6_2 Depth=1
	v_cvt_i32_f32_e32 v4, v2
	v_fma_f32 v20, v2, s45, |v16|
	v_fmac_f32_e32 v20, 0xb3a22168, v2
	v_fmac_f32_e32 v20, 0xa7c234c4, v2
.LBB6_18:                               ;   in Loop: Header=BB6_2 Depth=1
	s_or_b64 exec, exec, s[2:3]
	v_lshl_add_u64 v[22:23], s[24:25], 0, v[0:1]
	global_load_dword v21, v[22:23], off
                                        ; implicit-def: $vgpr25
                                        ; implicit-def: $vgpr26
	s_waitcnt vmcnt(0)
	v_and_b32_e32 v22, 0x7fffffff, v21
	v_lshrrev_b32_e32 v2, 23, v22
	v_and_b32_e32 v23, 0x7fffff, v22
	v_cmp_nlt_f32_e64 s[10:11], |v21|, s35
	v_add_u32_e32 v28, 0xffffff88, v2
	v_or_b32_e32 v27, 0x800000, v23
	s_and_saveexec_b64 s[2:3], s[10:11]
	s_xor_b64 s[12:13], exec, s[2:3]
	s_cbranch_execz .LBB6_20
; %bb.19:                               ;   in Loop: Header=BB6_2 Depth=1
	v_cmp_lt_u32_e32 vcc, 63, v28
	v_mad_u64_u32 v[24:25], s[6:7], v27, s36, 0
	s_nop 0
	v_cndmask_b32_e32 v2, 0, v7, vcc
	v_add_u32_e32 v2, v2, v28
	v_cmp_lt_u32_e64 s[2:3], 31, v2
	s_nop 1
	v_cndmask_b32_e64 v23, 0, v8, s[2:3]
	v_add_u32_e32 v2, v23, v2
	v_cmp_lt_u32_e64 s[4:5], 31, v2
	s_nop 1
	v_cndmask_b32_e64 v23, 0, v8, s[4:5]
	v_add_u32_e32 v23, v23, v2
	v_mov_b32_e32 v2, v25
	v_mad_u64_u32 v[30:31], s[6:7], v27, s37, v[2:3]
	v_mov_b32_e32 v2, v31
	v_mad_u64_u32 v[32:33], s[6:7], v27, s38, v[2:3]
	;; [unrolled: 2-line block ×6, first 2 shown]
	v_cndmask_b32_e32 v25, v38, v34, vcc
	v_cndmask_b32_e32 v2, v40, v36, vcc
	v_cndmask_b32_e32 v29, v41, v38, vcc
	v_cndmask_b32_e64 v26, v2, v25, s[2:3]
	v_cndmask_b32_e64 v2, v29, v2, s[2:3]
	v_cndmask_b32_e32 v29, v36, v32, vcc
	v_cndmask_b32_e64 v25, v25, v29, s[2:3]
	v_sub_u32_e32 v31, 32, v23
	v_cmp_eq_u32_e64 s[6:7], 0, v23
	v_cndmask_b32_e32 v23, v34, v30, vcc
	v_cndmask_b32_e64 v2, v2, v26, s[4:5]
	v_cndmask_b32_e64 v26, v26, v25, s[4:5]
	;; [unrolled: 1-line block ×3, first 2 shown]
	v_alignbit_b32 v33, v2, v26, v31
	v_cndmask_b32_e64 v25, v25, v29, s[4:5]
	v_cndmask_b32_e32 v24, v32, v24, vcc
	v_cndmask_b32_e64 v2, v33, v2, s[6:7]
	v_alignbit_b32 v30, v26, v25, v31
	v_cndmask_b32_e64 v23, v23, v24, s[2:3]
	v_cndmask_b32_e64 v26, v30, v26, s[6:7]
	v_bfe_u32 v34, v2, 29, 1
	v_cndmask_b32_e64 v23, v29, v23, s[4:5]
	v_alignbit_b32 v30, v2, v26, 30
	v_sub_u32_e32 v35, 0, v34
	v_alignbit_b32 v24, v25, v23, v31
	v_xor_b32_e32 v30, v30, v35
	v_cndmask_b32_e64 v24, v24, v25, s[6:7]
	v_alignbit_b32 v25, v26, v24, 30
	v_ffbh_u32_e32 v26, v30
	v_min_u32_e32 v26, 32, v26
	v_alignbit_b32 v23, v24, v23, 30
	v_xor_b32_e32 v25, v25, v35
	v_sub_u32_e32 v29, 31, v26
	v_xor_b32_e32 v23, v23, v35
	v_alignbit_b32 v30, v30, v25, v29
	v_alignbit_b32 v23, v25, v23, v29
	;; [unrolled: 1-line block ×3, first 2 shown]
	v_ffbh_u32_e32 v25, v24
	v_min_u32_e32 v25, 32, v25
	v_lshrrev_b32_e32 v33, 29, v2
	v_not_b32_e32 v29, v25
	v_alignbit_b32 v23, v24, v23, v29
	v_lshlrev_b32_e32 v24, 31, v33
	v_or_b32_e32 v29, 0x33000000, v24
	v_add_lshl_u32 v25, v25, v26, 23
	v_lshrrev_b32_e32 v23, 9, v23
	v_sub_u32_e32 v25, v29, v25
	v_or_b32_e32 v24, 0.5, v24
	v_lshlrev_b32_e32 v26, 23, v26
	v_or_b32_e32 v23, v25, v23
	v_lshrrev_b32_e32 v25, 9, v30
	v_sub_u32_e32 v24, v24, v26
	v_or_b32_e32 v24, v25, v24
	v_mul_f32_e32 v25, 0x3fc90fda, v24
	v_fma_f32 v26, v24, s43, -v25
	v_fmac_f32_e32 v26, 0x33a22168, v24
	v_fmac_f32_e32 v26, 0x3fc90fda, v23
	v_lshrrev_b32_e32 v2, 30, v2
	v_add_f32_e32 v26, v25, v26
	v_add_u32_e32 v25, v34, v2
.LBB6_20:                               ;   in Loop: Header=BB6_2 Depth=1
	s_or_saveexec_b64 s[2:3], s[12:13]
	v_mul_f32_e64 v2, |v21|, s44
	v_rndne_f32_e32 v2, v2
	s_xor_b64 exec, exec, s[2:3]
; %bb.21:                               ;   in Loop: Header=BB6_2 Depth=1
	v_cvt_i32_f32_e32 v25, v2
	v_fma_f32 v26, v2, s45, |v21|
	v_fmac_f32_e32 v26, 0xb3a22168, v2
	v_fmac_f32_e32 v26, 0xa7c234c4, v2
; %bb.22:                               ;   in Loop: Header=BB6_2 Depth=1
	s_or_b64 exec, exec, s[2:3]
                                        ; implicit-def: $vgpr23
                                        ; implicit-def: $vgpr24
	s_and_saveexec_b64 s[2:3], s[10:11]
	s_xor_b64 s[10:11], exec, s[2:3]
	s_cbranch_execz .LBB6_24
; %bb.23:                               ;   in Loop: Header=BB6_2 Depth=1
	v_cmp_lt_u32_e32 vcc, 63, v28
	s_nop 1
	v_cndmask_b32_e32 v2, 0, v7, vcc
	v_add_u32_e32 v2, v2, v28
	v_cmp_lt_u32_e64 s[2:3], 31, v2
	v_mad_u64_u32 v[28:29], s[6:7], v27, s36, 0
	s_nop 0
	v_cndmask_b32_e64 v23, 0, v8, s[2:3]
	v_add_u32_e32 v2, v23, v2
	v_cmp_lt_u32_e64 s[4:5], 31, v2
	s_nop 1
	v_cndmask_b32_e64 v23, 0, v8, s[4:5]
	v_add_u32_e32 v23, v23, v2
	v_mov_b32_e32 v2, v29
	v_mad_u64_u32 v[30:31], s[6:7], v27, s37, v[2:3]
	v_mov_b32_e32 v2, v31
	v_mad_u64_u32 v[32:33], s[6:7], v27, s38, v[2:3]
	;; [unrolled: 2-line block ×6, first 2 shown]
	v_cndmask_b32_e32 v24, v38, v34, vcc
	v_cndmask_b32_e32 v2, v40, v36, vcc
	;; [unrolled: 1-line block ×3, first 2 shown]
	v_cndmask_b32_e64 v27, v2, v24, s[2:3]
	v_cndmask_b32_e64 v2, v29, v2, s[2:3]
	v_cndmask_b32_e32 v29, v36, v32, vcc
	v_cndmask_b32_e64 v24, v24, v29, s[2:3]
	v_sub_u32_e32 v31, 32, v23
	v_cmp_eq_u32_e64 s[6:7], 0, v23
	v_cndmask_b32_e32 v23, v34, v30, vcc
	v_cndmask_b32_e64 v2, v2, v27, s[4:5]
	v_cndmask_b32_e64 v27, v27, v24, s[4:5]
	;; [unrolled: 1-line block ×3, first 2 shown]
	v_alignbit_b32 v33, v2, v27, v31
	v_cndmask_b32_e64 v24, v24, v29, s[4:5]
	v_cndmask_b32_e64 v2, v33, v2, s[6:7]
	v_alignbit_b32 v30, v27, v24, v31
	v_cndmask_b32_e32 v28, v32, v28, vcc
	v_cndmask_b32_e64 v27, v30, v27, s[6:7]
	v_bfe_u32 v34, v2, 29, 1
	v_cndmask_b32_e64 v23, v23, v28, s[2:3]
	v_alignbit_b32 v30, v2, v27, 30
	v_sub_u32_e32 v35, 0, v34
	v_cndmask_b32_e64 v23, v29, v23, s[4:5]
	v_xor_b32_e32 v30, v30, v35
	v_alignbit_b32 v28, v24, v23, v31
	v_cndmask_b32_e64 v24, v28, v24, s[6:7]
	v_ffbh_u32_e32 v28, v30
	v_alignbit_b32 v27, v27, v24, 30
	v_min_u32_e32 v28, 32, v28
	v_alignbit_b32 v23, v24, v23, 30
	v_xor_b32_e32 v27, v27, v35
	v_sub_u32_e32 v29, 31, v28
	v_xor_b32_e32 v23, v23, v35
	v_alignbit_b32 v30, v30, v27, v29
	v_alignbit_b32 v23, v27, v23, v29
	;; [unrolled: 1-line block ×3, first 2 shown]
	v_ffbh_u32_e32 v27, v24
	v_min_u32_e32 v27, 32, v27
	v_lshrrev_b32_e32 v33, 29, v2
	v_not_b32_e32 v29, v27
	v_alignbit_b32 v23, v24, v23, v29
	v_lshlrev_b32_e32 v24, 31, v33
	v_or_b32_e32 v29, 0x33000000, v24
	v_add_lshl_u32 v27, v27, v28, 23
	v_lshrrev_b32_e32 v23, 9, v23
	v_sub_u32_e32 v27, v29, v27
	v_or_b32_e32 v24, 0.5, v24
	v_lshlrev_b32_e32 v28, 23, v28
	v_or_b32_e32 v23, v27, v23
	v_lshrrev_b32_e32 v27, 9, v30
	v_sub_u32_e32 v24, v24, v28
	v_or_b32_e32 v24, v27, v24
	v_mul_f32_e32 v27, 0x3fc90fda, v24
	v_fma_f32 v28, v24, s43, -v27
	v_fmac_f32_e32 v28, 0x33a22168, v24
	v_fmac_f32_e32 v28, 0x3fc90fda, v23
	v_lshrrev_b32_e32 v2, 30, v2
	v_add_f32_e32 v24, v27, v28
	v_add_u32_e32 v23, v34, v2
                                        ; implicit-def: $vgpr2
	s_andn2_saveexec_b64 s[2:3], s[10:11]
	s_cbranch_execz .LBB6_1
	s_branch .LBB6_25
.LBB6_24:                               ;   in Loop: Header=BB6_2 Depth=1
	s_andn2_saveexec_b64 s[2:3], s[10:11]
	s_cbranch_execz .LBB6_1
.LBB6_25:                               ;   in Loop: Header=BB6_2 Depth=1
	v_cvt_i32_f32_e32 v23, v2
	v_fma_f32 v24, v2, s45, |v21|
	v_fmac_f32_e32 v24, 0xb3a22168, v2
	v_fmac_f32_e32 v24, 0xa7c234c4, v2
	s_branch .LBB6_1
.LBB6_26:
	scratch_load_dwordx4 v[0:3], off, off offset:608
	scratch_load_dwordx4 v[4:7], off, off offset:640
	;; [unrolled: 1-line block ×16, first 2 shown]
	s_load_dwordx2 s[2:3], s[0:1], 0x0
	s_load_dwordx4 s[20:23], s[0:1], 0x48
	scratch_load_dwordx4 v[64:67], off, off offset:288
	s_movk_i32 s0, 0x107c
	s_mov_b32 s27, 0
	s_waitcnt lgkmcnt(0)
	s_max_i32 s29, s3, 1
	s_max_i32 s36, s2, 1
	s_add_u32 s24, s16, 8
	s_addc_u32 s25, s17, 0
	s_movk_i32 s37, 0x46
	s_movk_i32 s38, 0x45
	s_mov_b32 s39, 0xf800000
	s_mov_b32 s28, 0x42340000
	;; [unrolled: 1-line block ×3, first 2 shown]
	v_mov_b32_e32 v71, 0
	s_waitcnt vmcnt(0)
	scratch_store_dwordx4 off, v[64:67], s0 ; 16-byte Folded Spill
	scratch_load_dwordx4 v[64:67], off, off offset:336
	s_movk_i32 s0, 0x108c
	s_waitcnt vmcnt(0)
	scratch_store_dwordx4 off, v[64:67], s0 ; 16-byte Folded Spill
	scratch_load_dwordx4 v[64:67], off, off offset:384
	s_movk_i32 s0, 0x109c
	;; [unrolled: 4-line block ×7, first 2 shown]
	s_waitcnt vmcnt(0)
	scratch_store_dwordx4 off, v[64:67], s0 ; 16-byte Folded Spill
	s_nop 1
	v_mov_b32_e32 v64, v3
	v_mov_b32_e32 v65, v7
	s_movk_i32 s0, 0x10fc
	scratch_store_dwordx2 off, v[64:65], s0 ; 8-byte Folded Spill
	v_mov_b32_e32 v64, v0
	v_mov_b32_e32 v65, v4
	s_movk_i32 s0, 0x1104
	v_mov_b32_e32 v3, v6
	scratch_store_dwordx2 off, v[64:65], s0 ; 8-byte Folded Spill
	v_mov_b32_e32 v4, v1
	scratch_store_dwordx4 off, v[0:3], off offset:3964 ; 16-byte Folded Spill
	s_movk_i32 s0, 0x110c
	scratch_store_dwordx4 off, v[4:7], off offset:3980 ; 16-byte Folded Spill
	v_mov_b32_e32 v0, v11
	v_mov_b32_e32 v1, v15
	scratch_store_dwordx2 off, v[0:1], s0   ; 8-byte Folded Spill
	v_mov_b32_e32 v0, v8
	v_mov_b32_e32 v1, v12
	s_movk_i32 s0, 0x1114
	scratch_store_dwordx2 off, v[0:1], s0   ; 8-byte Folded Spill
	v_mov_b32_e32 v0, v19
	v_mov_b32_e32 v1, v23
	s_movk_i32 s0, 0x111c
	;; [unrolled: 4-line block ×7, first 2 shown]
	scratch_store_dwordx2 off, v[0:1], s0   ; 8-byte Folded Spill
	v_mov_b32_e32 v36, v33
	s_movk_i32 s0, 0x100c
	scratch_store_dwordx4 off, v[36:39], s0 ; 16-byte Folded Spill
	v_mov_b32_e32 v0, v43
	v_mov_b32_e32 v1, v47
	s_movk_i32 s0, 0x114c
	scratch_store_dwordx2 off, v[0:1], s0   ; 8-byte Folded Spill
	v_mov_b32_e32 v0, v40
	v_mov_b32_e32 v1, v44
	s_movk_i32 s0, 0x1154
	scratch_store_dwordx2 off, v[0:1], s0   ; 8-byte Folded Spill
	v_mov_b32_e32 v44, v41
	s_movk_i32 s0, 0x102c
	scratch_store_dwordx4 off, v[44:47], s0 ; 16-byte Folded Spill
	v_mov_b32_e32 v43, v46
	s_movk_i32 s0, 0x101c
	scratch_store_dwordx4 off, v[40:43], s0 ; 16-byte Folded Spill
	v_mov_b32_e32 v0, v51
	v_mov_b32_e32 v1, v55
	s_movk_i32 s0, 0x115c
	scratch_store_dwordx2 off, v[0:1], s0   ; 8-byte Folded Spill
	v_mov_b32_e32 v0, v48
	v_mov_b32_e32 v1, v52
	s_movk_i32 s0, 0x1164
	scratch_store_dwordx2 off, v[0:1], s0   ; 8-byte Folded Spill
	v_mov_b32_e32 v52, v49
	s_movk_i32 s0, 0x104c
	scratch_store_dwordx4 off, v[52:55], s0 ; 16-byte Folded Spill
	v_mov_b32_e32 v51, v54
	s_movk_i32 s0, 0x103c
	scratch_store_dwordx4 off, v[48:51], s0 ; 16-byte Folded Spill
	v_mov_b32_e32 v0, v59
	v_mov_b32_e32 v1, v63
	s_movk_i32 s0, 0x116c
	scratch_store_dwordx2 off, v[0:1], s0   ; 8-byte Folded Spill
	v_mov_b32_e32 v0, v56
	v_mov_b32_e32 v1, v60
	s_movk_i32 s0, 0x1174
	scratch_store_dwordx2 off, v[0:1], s0   ; 8-byte Folded Spill
	v_mov_b32_e32 v60, v57
	s_movk_i32 s0, 0x106c
	v_mov_b32_e32 v12, v9
	v_mov_b32_e32 v11, v14
	;; [unrolled: 1-line block ×7, first 2 shown]
	scratch_store_dwordx4 off, v[60:63], s0 ; 16-byte Folded Spill
	v_mov_b32_e32 v59, v62
	s_movk_i32 s0, 0x105c
	scratch_store_dwordx4 off, v[12:15], off offset:4012 ; 16-byte Folded Spill
	scratch_store_dwordx4 off, v[8:11], off offset:3996 ; 16-byte Folded Spill
	;; [unrolled: 1-line block ×7, first 2 shown]
	scratch_store_dwordx4 off, v[56:59], s0 ; 16-byte Folded Spill
	scratch_load_dwordx4 v[0:3], off, off offset:656
	scratch_load_dwordx4 v[4:7], off, off offset:672
	s_movk_i32 s0, 0x118c
	v_mov_b32_e32 v61, 0x42980000
	s_waitcnt vmcnt(0)
	scratch_store_dwordx4 off, v[4:7], s0   ; 16-byte Folded Spill
	scratch_load_dwordx4 v[6:9], off, off offset:688
	s_nop 0
	scratch_load_dwordx4 v[10:13], off, off offset:704
	v_mov_b32_e32 v4, v0
	s_movk_i32 s0, 0x119c
	s_waitcnt vmcnt(1)
	v_mov_b32_e32 v5, v6
	scratch_store_dwordx2 off, v[4:5], s0   ; 8-byte Folded Spill
	v_mov_b32_e32 v4, v3
	v_mov_b32_e32 v5, v9
	s_movk_i32 s0, 0x11c4
	v_mov_b32_e32 v6, v1
	scratch_store_dwordx2 off, v[4:5], s0   ; 8-byte Folded Spill
	v_mov_b64_e32 v[0:1], v[6:7]
	s_movk_i32 s0, 0x11a4
	scratch_store_dwordx4 off, v[0:3], s0   ; 16-byte Folded Spill
	s_movk_i32 s0, 0x117c
	s_nop 0
	v_mov_b32_e32 v3, v8
	scratch_store_dwordx4 off, v[0:3], s0   ; 16-byte Folded Spill
	scratch_load_dwordx4 v[2:5], off, off offset:736
	s_nop 0
	scratch_load_dwordx4 v[6:9], off, off offset:720
	s_movk_i32 s0, 0x11e4
	s_waitcnt vmcnt(6)
	v_mov_b32_e32 v0, v10
	s_waitcnt vmcnt(1)
	v_mov_b32_e32 v1, v2
	s_waitcnt vmcnt(0)
	scratch_store_dwordx4 off, v[6:9], s0   ; 16-byte Folded Spill
	s_movk_i32 s0, 0x11cc
	scratch_store_dwordx2 off, v[0:1], s0   ; 8-byte Folded Spill
	v_mov_b32_e32 v0, v13
	v_mov_b32_e32 v1, v5
	s_movk_i32 s0, 0x11f4
	v_mov_b32_e32 v2, v11
	scratch_store_dwordx2 off, v[0:1], s0   ; 8-byte Folded Spill
	v_mov_b64_e32 v[0:1], v[2:3]
	s_movk_i32 s0, 0x11d4
	scratch_store_dwordx4 off, v[0:3], s0   ; 16-byte Folded Spill
	v_mov_b32_e32 v13, v4
	s_movk_i32 s0, 0x11b4
	scratch_store_dwordx4 off, v[10:13], s0 ; 16-byte Folded Spill
	scratch_load_dwordx4 v[0:3], off, off offset:752
	scratch_load_dwordx4 v[4:7], off, off offset:768
	s_movk_i32 s0, 0x120c
	s_waitcnt vmcnt(0)
	scratch_store_dwordx4 off, v[4:7], s0   ; 16-byte Folded Spill
	scratch_load_dwordx4 v[6:9], off, off offset:784
	s_nop 0
	scratch_load_dwordx4 v[10:13], off, off offset:800
	v_mov_b32_e32 v4, v0
	s_movk_i32 s0, 0x121c
	s_waitcnt vmcnt(1)
	v_mov_b32_e32 v5, v6
	scratch_store_dwordx2 off, v[4:5], s0   ; 8-byte Folded Spill
	v_mov_b32_e32 v4, v3
	v_mov_b32_e32 v5, v9
	s_movk_i32 s0, 0x1244
	v_mov_b32_e32 v6, v1
	scratch_store_dwordx2 off, v[4:5], s0   ; 8-byte Folded Spill
	v_mov_b64_e32 v[0:1], v[6:7]
	s_movk_i32 s0, 0x1224
	scratch_store_dwordx4 off, v[0:3], s0   ; 16-byte Folded Spill
	s_movk_i32 s0, 0x11fc
	s_nop 0
	v_mov_b32_e32 v3, v8
	scratch_store_dwordx4 off, v[0:3], s0   ; 16-byte Folded Spill
	scratch_load_dwordx4 v[2:5], off, off offset:832
	s_nop 0
	scratch_load_dwordx4 v[6:9], off, off offset:816
	s_movk_i32 s0, 0x1264
	s_waitcnt vmcnt(6)
	v_mov_b32_e32 v0, v10
	s_waitcnt vmcnt(1)
	v_mov_b32_e32 v1, v2
	s_waitcnt vmcnt(0)
	scratch_store_dwordx4 off, v[6:9], s0   ; 16-byte Folded Spill
	s_movk_i32 s0, 0x124c
	scratch_store_dwordx2 off, v[0:1], s0   ; 8-byte Folded Spill
	v_mov_b32_e32 v0, v13
	v_mov_b32_e32 v1, v5
	s_movk_i32 s0, 0x1274
	v_mov_b32_e32 v2, v11
	scratch_store_dwordx2 off, v[0:1], s0   ; 8-byte Folded Spill
	v_mov_b64_e32 v[0:1], v[2:3]
	s_movk_i32 s0, 0x1254
	scratch_store_dwordx4 off, v[0:3], s0   ; 16-byte Folded Spill
	v_mov_b32_e32 v13, v4
	s_movk_i32 s0, 0x1234
	scratch_store_dwordx4 off, v[10:13], s0 ; 16-byte Folded Spill
	scratch_load_dwordx4 v[0:3], off, off offset:848
	scratch_load_dwordx4 v[4:7], off, off offset:864
	s_movk_i32 s0, 0x128c
	;; [unrolled: 48-line block ×11, first 2 shown]
	s_waitcnt vmcnt(0)
	scratch_store_dwordx4 off, v[4:7], s0   ; 16-byte Folded Spill
	scratch_load_dwordx4 v[6:9], off, off offset:1744
	s_nop 0
	scratch_load_dwordx4 v[10:13], off, off offset:1760
	v_mov_b32_e32 v4, v0
	s_movk_i32 s0, 0x171c
	s_waitcnt vmcnt(1)
	v_mov_b32_e32 v5, v6
	scratch_store_dwordx2 off, v[4:5], s0   ; 8-byte Folded Spill
	v_mov_b32_e32 v4, v3
	v_mov_b32_e32 v5, v9
	s_movk_i32 s0, 0x1744
	v_mov_b32_e32 v6, v1
	scratch_store_dwordx2 off, v[4:5], s0   ; 8-byte Folded Spill
	v_mov_b64_e32 v[0:1], v[6:7]
	s_movk_i32 s0, 0x1724
	scratch_store_dwordx4 off, v[0:3], s0   ; 16-byte Folded Spill
	s_movk_i32 s0, 0x16fc
	s_nop 0
	v_mov_b32_e32 v3, v8
	scratch_store_dwordx4 off, v[0:3], s0   ; 16-byte Folded Spill
	scratch_load_dwordx4 v[2:5], off, off offset:1792
	s_nop 0
	scratch_load_dwordx4 v[6:9], off, off offset:1776
	s_movk_i32 s0, 0x1764
	s_waitcnt vmcnt(6)
	v_mov_b32_e32 v0, v10
	s_waitcnt vmcnt(1)
	v_mov_b32_e32 v1, v2
	s_waitcnt vmcnt(0)
	scratch_store_dwordx4 off, v[6:9], s0   ; 16-byte Folded Spill
	s_movk_i32 s0, 0x174c
	scratch_store_dwordx2 off, v[0:1], s0   ; 8-byte Folded Spill
	v_mov_b32_e32 v0, v13
	v_mov_b32_e32 v1, v5
	s_movk_i32 s0, 0x1774
	v_mov_b32_e32 v2, v11
	scratch_store_dwordx2 off, v[0:1], s0   ; 8-byte Folded Spill
	v_mov_b64_e32 v[0:1], v[2:3]
	s_movk_i32 s0, 0x1754
	scratch_store_dwordx4 off, v[0:3], s0   ; 16-byte Folded Spill
	scratch_load_dword v0, off, off offset:1884
	v_mov_b32_e32 v13, v4
	s_movk_i32 s0, 0x1734
	scratch_store_dwordx4 off, v[10:13], s0 ; 16-byte Folded Spill
	s_movk_i32 s0, 0x177c
	s_waitcnt vmcnt(1)
	scratch_store_dword off, v0, s0         ; 4-byte Folded Spill
	scratch_load_dwordx4 v[0:3], off, off offset:1808
	s_nop 0
	scratch_load_dwordx4 v[4:7], off, off offset:1824
	s_movk_i32 s0, 0x1790
	s_waitcnt vmcnt(0)
	scratch_store_dwordx4 off, v[4:7], s0   ; 16-byte Folded Spill
	scratch_load_dwordx4 v[6:9], off, off offset:1840
	s_nop 0
	v_mov_b32_e32 v4, v0
	s_movk_i32 s0, 0x17a0
	s_waitcnt vmcnt(0)
	v_mov_b32_e32 v5, v6
	scratch_store_dwordx2 off, v[4:5], s0   ; 8-byte Folded Spill
	v_mov_b32_e32 v4, v3
	v_mov_b32_e32 v5, v9
	s_movk_i32 s0, 0x17b8
	v_mov_b32_e32 v6, v1
	scratch_store_dwordx2 off, v[4:5], s0   ; 8-byte Folded Spill
	v_mov_b64_e32 v[0:1], v[6:7]
	s_movk_i32 s0, 0x17a8
	scratch_store_dwordx4 off, v[0:3], s0   ; 16-byte Folded Spill
	s_movk_i32 s0, 0x1780
	v_mov_b32_e32 v9, 0x260
	v_mov_b32_e32 v3, v8
	scratch_store_dwordx4 off, v[0:3], s0   ; 16-byte Folded Spill
	scratch_load_dword v0, off, off offset:1872
	s_movk_i32 s0, 0x17c0
	s_waitcnt vmcnt(0)
	scratch_store_dword off, v0, s0         ; 4-byte Folded Spill
.LBB6_27:                               ; =>This Loop Header: Depth=1
                                        ;     Child Loop BB6_28 Depth 2
	s_lshl_b64 s[0:1], s[26:27], 4
	s_add_u32 s0, s18, s0
	s_addc_u32 s1, s19, s1
	scratch_load_dwordx2 v[0:1], off, off offset:1876
	scratch_load_dwordx4 v[10:13], off, off offset:1856
	scratch_load_dwordx4 v[14:17], off, off offset:1888
	;; [unrolled: 1-line block ×3, first 2 shown]
	global_load_dwordx4 v[4:7], v71, s[0:1]
	s_movk_i32 s0, 0x177c
	s_mov_b32 s40, s29
	s_mov_b64 s[30:31], s[24:25]
	s_waitcnt vmcnt(2)
	v_mov_b32_e32 v3, v14
	v_mov_b32_e32 v2, v10
	;; [unrolled: 1-line block ×4, first 2 shown]
	s_waitcnt vmcnt(0)
	v_pk_fma_f32 v[2:3], v[4:5], v[2:3], v[22:23] op_sel_hi:[0,1,1]
	v_mov_b32_e32 v14, v11
	v_mov_b32_e32 v13, v16
	v_pk_fma_f32 v[2:3], v[4:5], v[14:15], v[2:3] op_sel:[1,0,0]
	scratch_load_dwordx4 v[14:17], off, off offset:1936
	scratch_load_dwordx4 v[22:25], off, off offset:1920
	v_mov_b32_e32 v10, v18
	v_mov_b32_e32 v26, v21
	v_pk_fma_f32 v[2:3], v[6:7], v[12:13], v[2:3] op_sel_hi:[0,1,1]
	s_waitcnt vmcnt(1)
	v_mov_b32_e32 v11, v14
	v_mov_b32_e32 v27, v17
	v_pk_fma_f32 v[10:11], v[4:5], v[10:11], v[26:27] op_sel_hi:[0,1,1]
	v_mov_b32_e32 v14, v19
	v_mov_b32_e32 v21, v16
	v_pk_fma_f32 v[10:11], v[4:5], v[14:15], v[10:11] op_sel:[1,0,0]
	scratch_load_dwordx4 v[14:17], off, off offset:1952
	scratch_load_dwordx4 v[26:29], off, off offset:1968
	;; [unrolled: 1-line block ×4, first 2 shown]
	s_waitcnt vmcnt(3)
	v_mov_b32_e32 v18, v14
	s_waitcnt vmcnt(1)
	v_mov_b32_e32 v19, v30
	v_mov_b32_e32 v38, v17
	;; [unrolled: 1-line block ×3, first 2 shown]
	v_pk_fma_f32 v[18:19], v[4:5], v[18:19], v[38:39] op_sel_hi:[0,1,1]
	v_mov_b32_e32 v30, v15
	v_mov_b32_e32 v17, v32
	v_pk_fma_f32 v[14:15], v[4:5], v[30:31], v[18:19] op_sel:[1,0,0]
	scratch_load_dwordx4 v[30:33], off, off offset:2032
	scratch_load_dwordx4 v[38:41], off, off offset:2016
	s_waitcnt vmcnt(2)
	v_mov_b32_e32 v18, v34
	v_mov_b32_e32 v42, v37
	s_waitcnt vmcnt(1)
	v_mov_b32_e32 v19, v30
	v_mov_b32_e32 v43, v33
	v_pk_fma_f32 v[18:19], v[4:5], v[18:19], v[42:43] op_sel_hi:[0,1,1]
	v_mov_b32_e32 v30, v35
	v_mov_b32_e32 v37, v32
	v_pk_fma_f32 v[18:19], v[4:5], v[30:31], v[18:19] op_sel:[1,0,0]
	scratch_load_dwordx4 v[30:33], off, off offset:2048
	scratch_load_dwordx4 v[42:45], off, off offset:2064
	;; [unrolled: 1-line block ×4, first 2 shown]
	s_waitcnt vmcnt(3)
	v_mov_b32_e32 v34, v30
	scratch_store_dwordx2 off, v[2:3], off offset:3344 ; 8-byte Folded Spill
	v_fma_f32 v2, v4, v22, v25
	v_fmac_f32_e32 v2, v5, v23
	v_fmac_f32_e32 v2, v6, v24
	scratch_store_dword off, v2, off offset:3352 ; 4-byte Folded Spill
	v_pk_fma_f32 v[2:3], v[6:7], v[20:21], v[10:11] op_sel_hi:[0,1,1]
	scratch_store_dwordx2 off, v[2:3], off offset:3356 ; 8-byte Folded Spill
	v_fma_f32 v2, v4, v26, v29
	v_fmac_f32_e32 v2, v5, v27
	v_fmac_f32_e32 v2, v6, v28
	scratch_store_dword off, v2, off offset:3364 ; 4-byte Folded Spill
	v_pk_fma_f32 v[2:3], v[6:7], v[16:17], v[14:15] op_sel_hi:[0,1,1]
	scratch_store_dwordx2 off, v[2:3], off offset:3368 ; 8-byte Folded Spill
	v_fma_f32 v2, v4, v38, v41
	v_fmac_f32_e32 v2, v5, v39
	v_fmac_f32_e32 v2, v6, v40
	scratch_store_dword off, v2, off offset:3376 ; 4-byte Folded Spill
	v_pk_fma_f32 v[2:3], v[6:7], v[36:37], v[18:19] op_sel_hi:[0,1,1]
	s_waitcnt vmcnt(7)
	v_mov_b32_e32 v35, v46
	v_mov_b32_e32 v54, v33
	;; [unrolled: 1-line block ×3, first 2 shown]
	scratch_store_dwordx2 off, v[2:3], off offset:3380 ; 8-byte Folded Spill
	v_fma_f32 v2, v4, v42, v45
	v_pk_fma_f32 v[34:35], v[4:5], v[34:35], v[54:55] op_sel_hi:[0,1,1]
	v_mov_b32_e32 v46, v31
	v_fmac_f32_e32 v2, v5, v43
	v_mov_b32_e32 v33, v48
	v_pk_fma_f32 v[30:31], v[4:5], v[46:47], v[34:35] op_sel:[1,0,0]
	v_fmac_f32_e32 v2, v6, v44
	scratch_store_dword off, v2, off offset:3388 ; 4-byte Folded Spill
	v_pk_fma_f32 v[2:3], v[6:7], v[32:33], v[30:31] op_sel_hi:[0,1,1]
	scratch_store_dwordx2 off, v[2:3], off offset:3392 ; 8-byte Folded Spill
	scratch_load_dwordx4 v[10:13], off, off offset:2112
	scratch_load_dwordx4 v[14:17], off, off offset:2128
	s_waitcnt vmcnt(1)
	v_fma_f32 v2, v4, v10, v13
	v_fmac_f32_e32 v2, v5, v11
	v_fmac_f32_e32 v2, v6, v12
	scratch_store_dword off, v2, off offset:3400 ; 4-byte Folded Spill
	v_mov_b32_e32 v2, v50
	s_waitcnt vmcnt(1)
	v_mov_b32_e32 v3, v14
	v_mov_b32_e32 v10, v53
	v_mov_b32_e32 v11, v17
	v_pk_fma_f32 v[2:3], v[4:5], v[2:3], v[10:11] op_sel_hi:[0,1,1]
	v_mov_b32_e32 v14, v51
	v_pk_fma_f32 v[2:3], v[4:5], v[14:15], v[2:3] op_sel:[1,0,0]
	v_mov_b32_e32 v53, v16
	v_pk_fma_f32 v[2:3], v[6:7], v[52:53], v[2:3] op_sel_hi:[0,1,1]
	scratch_store_dwordx2 off, v[2:3], off offset:3404 ; 8-byte Folded Spill
	scratch_load_dwordx4 v[10:13], off, off offset:2160
	scratch_load_dwordx4 v[14:17], off, off offset:2144
	s_waitcnt vmcnt(1)
	v_fma_f32 v2, v4, v10, v13
	v_fmac_f32_e32 v2, v5, v11
	v_fmac_f32_e32 v2, v6, v12
	scratch_store_dword off, v2, off offset:3412 ; 4-byte Folded Spill
	scratch_load_dwordx4 v[10:13], off, off offset:2176
	scratch_load_dwordx4 v[18:21], off, off offset:2192
	s_waitcnt vmcnt(3)
	v_mov_b32_e32 v2, v14
	v_mov_b32_e32 v22, v17
	s_waitcnt vmcnt(1)
	v_mov_b32_e32 v3, v10
	v_mov_b32_e32 v23, v13
	v_pk_fma_f32 v[2:3], v[4:5], v[2:3], v[22:23] op_sel_hi:[0,1,1]
	v_mov_b32_e32 v10, v15
	v_pk_fma_f32 v[2:3], v[4:5], v[10:11], v[2:3] op_sel:[1,0,0]
	v_mov_b32_e32 v17, v12
	v_pk_fma_f32 v[2:3], v[6:7], v[16:17], v[2:3] op_sel_hi:[0,1,1]
	scratch_store_dwordx2 off, v[2:3], off offset:3416 ; 8-byte Folded Spill
	scratch_load_dwordx4 v[10:13], off, off offset:2208
	scratch_load_dwordx4 v[14:17], off, off offset:2224
	s_waitcnt vmcnt(1)
	v_fma_f32 v2, v4, v10, v13
	v_fmac_f32_e32 v2, v5, v11
	v_fmac_f32_e32 v2, v6, v12
	scratch_store_dword off, v2, off offset:3424 ; 4-byte Folded Spill
	v_mov_b32_e32 v2, v18
	s_waitcnt vmcnt(1)
	v_mov_b32_e32 v3, v14
	v_mov_b32_e32 v10, v21
	v_mov_b32_e32 v11, v17
	v_pk_fma_f32 v[2:3], v[4:5], v[2:3], v[10:11] op_sel_hi:[0,1,1]
	v_mov_b32_e32 v14, v19
	v_pk_fma_f32 v[2:3], v[4:5], v[14:15], v[2:3] op_sel:[1,0,0]
	v_mov_b32_e32 v21, v16
	v_pk_fma_f32 v[2:3], v[6:7], v[20:21], v[2:3] op_sel_hi:[0,1,1]
	scratch_store_dwordx2 off, v[2:3], off offset:3428 ; 8-byte Folded Spill
	scratch_load_dwordx4 v[10:13], off, off offset:2256
	scratch_load_dwordx4 v[14:17], off, off offset:2240
	s_waitcnt vmcnt(1)
	v_fma_f32 v2, v4, v10, v13
	v_fmac_f32_e32 v2, v5, v11
	v_fmac_f32_e32 v2, v6, v12
	scratch_store_dword off, v2, off offset:3436 ; 4-byte Folded Spill
	scratch_load_dwordx4 v[10:13], off, off offset:2272
	scratch_load_dwordx4 v[18:21], off, off offset:2288
	s_waitcnt vmcnt(3)
	v_mov_b32_e32 v2, v14
	v_mov_b32_e32 v22, v17
	s_waitcnt vmcnt(1)
	v_mov_b32_e32 v3, v10
	v_mov_b32_e32 v23, v13
	v_pk_fma_f32 v[2:3], v[4:5], v[2:3], v[22:23] op_sel_hi:[0,1,1]
	v_mov_b32_e32 v10, v15
	v_pk_fma_f32 v[2:3], v[4:5], v[10:11], v[2:3] op_sel:[1,0,0]
	v_mov_b32_e32 v17, v12
	;; [unrolled: 39-line block ×10, first 2 shown]
	v_pk_fma_f32 v[2:3], v[6:7], v[16:17], v[2:3] op_sel_hi:[0,1,1]
	scratch_store_dwordx2 off, v[2:3], off offset:3632 ; 8-byte Folded Spill
	scratch_load_dwordx4 v[10:13], off, off offset:3072
	scratch_load_dwordx4 v[14:17], off, off offset:3088
	s_waitcnt vmcnt(1)
	v_fma_f32 v2, v4, v10, v13
	v_fmac_f32_e32 v2, v5, v11
	v_fmac_f32_e32 v2, v6, v12
	scratch_store_dword off, v2, off offset:3640 ; 4-byte Folded Spill
	v_mov_b32_e32 v2, v18
	s_waitcnt vmcnt(1)
	v_mov_b32_e32 v3, v14
	v_mov_b32_e32 v10, v21
	;; [unrolled: 1-line block ×3, first 2 shown]
	v_pk_fma_f32 v[2:3], v[4:5], v[2:3], v[10:11] op_sel_hi:[0,1,1]
	v_mov_b32_e32 v14, v19
	v_pk_fma_f32 v[2:3], v[4:5], v[14:15], v[2:3] op_sel:[1,0,0]
	v_mov_b32_e32 v21, v16
	v_pk_fma_f32 v[2:3], v[6:7], v[20:21], v[2:3] op_sel_hi:[0,1,1]
	scratch_store_dwordx2 off, v[2:3], off offset:3644 ; 8-byte Folded Spill
	scratch_load_dwordx4 v[10:13], off, off offset:3120
	scratch_load_dwordx4 v[14:17], off, off offset:3104
	s_waitcnt vmcnt(1)
	v_fma_f32 v76, v4, v10, v13
	v_fmac_f32_e32 v76, v5, v11
	v_fmac_f32_e32 v76, v6, v12
	scratch_load_dwordx4 v[10:13], off, off offset:3136
	scratch_load_dwordx4 v[18:21], off, off offset:3152
	s_waitcnt vmcnt(2)
	v_mov_b32_e32 v2, v14
	v_mov_b32_e32 v22, v17
	s_waitcnt vmcnt(1)
	v_mov_b32_e32 v3, v10
	v_mov_b32_e32 v23, v13
	v_pk_fma_f32 v[2:3], v[4:5], v[2:3], v[22:23] op_sel_hi:[0,1,1]
	v_mov_b32_e32 v10, v15
	v_pk_fma_f32 v[2:3], v[4:5], v[10:11], v[2:3] op_sel:[1,0,0]
	v_mov_b32_e32 v17, v12
	v_pk_fma_f32 v[2:3], v[6:7], v[16:17], v[2:3] op_sel_hi:[0,1,1]
	scratch_store_dwordx2 off, v[2:3], off offset:3652 ; 8-byte Folded Spill
	scratch_load_dwordx4 v[10:13], off, off offset:3168
	scratch_load_dwordx4 v[14:17], off, off offset:3184
	s_waitcnt vmcnt(3)
	v_mov_b32_e32 v2, v18
	s_waitcnt vmcnt(1)
	v_fma_f32 v77, v4, v10, v13
	v_fmac_f32_e32 v77, v5, v11
	s_waitcnt vmcnt(0)
	v_mov_b32_e32 v3, v14
	v_mov_b32_e32 v10, v21
	;; [unrolled: 1-line block ×3, first 2 shown]
	v_pk_fma_f32 v[2:3], v[4:5], v[2:3], v[10:11] op_sel_hi:[0,1,1]
	v_mov_b32_e32 v14, v19
	v_pk_fma_f32 v[2:3], v[4:5], v[14:15], v[2:3] op_sel:[1,0,0]
	v_mov_b32_e32 v21, v16
	v_pk_fma_f32 v[2:3], v[6:7], v[20:21], v[2:3] op_sel_hi:[0,1,1]
	scratch_store_dwordx2 off, v[2:3], off offset:3660 ; 8-byte Folded Spill
	v_fmac_f32_e32 v77, v6, v12
	scratch_load_dwordx4 v[10:13], off, off offset:3216
	scratch_load_dwordx4 v[14:17], off, off offset:3200
	s_waitcnt vmcnt(1)
	v_fma_f32 v78, v4, v10, v13
	v_fmac_f32_e32 v78, v5, v11
	v_fmac_f32_e32 v78, v6, v12
	scratch_load_dwordx4 v[10:13], off, off offset:3232
	scratch_load_dwordx4 v[18:21], off, off offset:3248
	s_waitcnt vmcnt(2)
	v_mov_b32_e32 v2, v14
	v_mov_b32_e32 v22, v17
	s_waitcnt vmcnt(1)
	v_mov_b32_e32 v3, v10
	v_mov_b32_e32 v23, v13
	v_pk_fma_f32 v[2:3], v[4:5], v[2:3], v[22:23] op_sel_hi:[0,1,1]
	v_mov_b32_e32 v10, v15
	v_pk_fma_f32 v[2:3], v[4:5], v[10:11], v[2:3] op_sel:[1,0,0]
	v_mov_b32_e32 v17, v12
	v_pk_fma_f32 v[2:3], v[6:7], v[16:17], v[2:3] op_sel_hi:[0,1,1]
	scratch_store_dwordx2 off, v[2:3], off offset:3668 ; 8-byte Folded Spill
	scratch_load_dwordx4 v[10:13], off, off offset:3264
	scratch_load_dwordx4 v[14:17], off, off offset:3280
	s_waitcnt vmcnt(3)
	v_mov_b32_e32 v2, v18
	s_waitcnt vmcnt(1)
	v_fma_f32 v79, v4, v10, v13
	v_fmac_f32_e32 v79, v5, v11
	s_waitcnt vmcnt(0)
	v_mov_b32_e32 v3, v14
	v_mov_b32_e32 v10, v21
	v_mov_b32_e32 v11, v17
	v_pk_fma_f32 v[2:3], v[4:5], v[2:3], v[10:11] op_sel_hi:[0,1,1]
	v_mov_b32_e32 v14, v19
	v_pk_fma_f32 v[2:3], v[4:5], v[14:15], v[2:3] op_sel:[1,0,0]
	v_mov_b32_e32 v21, v16
	v_pk_fma_f32 v[2:3], v[6:7], v[20:21], v[2:3] op_sel_hi:[0,1,1]
	scratch_store_dwordx2 off, v[2:3], off offset:3676 ; 8-byte Folded Spill
	v_fmac_f32_e32 v79, v6, v12
	scratch_load_dwordx4 v[10:13], off, off offset:3312
	scratch_load_dwordx4 v[14:17], off, off offset:3296
	s_waitcnt vmcnt(1)
	v_fma_f32 v104, v4, v10, v13
	v_fmac_f32_e32 v104, v5, v11
	v_fmac_f32_e32 v104, v6, v12
	scratch_load_dwordx4 v[10:13], off, off offset:3328
	s_waitcnt vmcnt(1)
	v_mov_b32_e32 v2, v14
	v_mov_b32_e32 v18, v17
	s_waitcnt vmcnt(0)
	v_mov_b32_e32 v3, v10
	v_mov_b32_e32 v19, v13
	v_pk_fma_f32 v[2:3], v[4:5], v[2:3], v[18:19] op_sel_hi:[0,1,1]
	v_mov_b32_e32 v10, v15
	v_pk_fma_f32 v[2:3], v[4:5], v[10:11], v[2:3] op_sel:[1,0,0]
	v_mov_b32_e32 v17, v12
	v_pk_fma_f32 v[2:3], v[6:7], v[16:17], v[2:3] op_sel_hi:[0,1,1]
	scratch_store_dwordx2 off, v[2:3], off offset:3684 ; 8-byte Folded Spill
	scratch_load_dword v2, off, s0          ; 4-byte Folded Reload
	s_movk_i32 s0, 0x17c0
	scratch_load_dword v3, off, s0          ; 4-byte Folded Reload
	s_movk_i32 s0, 0x107c
	scratch_load_dwordx4 v[10:13], off, s0  ; 16-byte Folded Reload
	s_movk_i32 s0, 0x116c
	s_waitcnt vmcnt(1)
	v_fma_f32 v105, v4, v3, v2
	scratch_load_dwordx2 v[2:3], off, s0    ; 8-byte Folded Reload
	s_waitcnt vmcnt(1)
	v_fma_f32 v122, v4, v10, v13
	s_movk_i32 s0, 0x1174
	v_fmac_f32_e32 v122, v5, v11
	scratch_load_dwordx2 v[10:11], off, s0  ; 8-byte Folded Reload
	s_movk_i32 s0, 0x106c
	v_fmac_f32_e32 v122, v6, v12
	v_fmac_f32_e32 v105, v5, v0
	v_fmac_f32_e32 v105, v6, v1
	v_ashrrev_i32_e32 v1, 31, v7
	v_mov_b32_e32 v0, v7
	v_lshlrev_b64 v[0:1], 4, v[0:1]
	v_lshl_add_u64 v[0:1], s[22:23], 0, v[0:1]
	s_waitcnt vmcnt(0)
	v_pk_fma_f32 v[2:3], v[4:5], v[10:11], v[2:3] op_sel_hi:[0,1,1]
	scratch_load_dwordx4 v[10:13], off, s0  ; 16-byte Folded Reload
	s_movk_i32 s0, 0x105c
	s_waitcnt vmcnt(0)
	v_pk_fma_f32 v[2:3], v[4:5], v[10:11], v[2:3] op_sel:[1,0,0]
	scratch_load_dwordx4 v[10:13], off, s0  ; 16-byte Folded Reload
	s_movk_i32 s0, 0x108c
	s_waitcnt vmcnt(0)
	v_pk_fma_f32 v[2:3], v[6:7], v[12:13], v[2:3] op_sel_hi:[0,1,1]
	scratch_load_dwordx4 v[10:13], off, s0  ; 16-byte Folded Reload
	s_movk_i32 s0, 0x115c
	scratch_store_dwordx2 off, v[2:3], off offset:3692 ; 8-byte Folded Spill
	scratch_load_dwordx2 v[2:3], off, s0    ; 8-byte Folded Reload
	s_movk_i32 s0, 0x1164
	s_waitcnt vmcnt(2)
	v_fma_f32 v123, v4, v10, v13
	v_fmac_f32_e32 v123, v5, v11
	scratch_load_dwordx2 v[10:11], off, s0  ; 8-byte Folded Reload
	s_movk_i32 s0, 0x104c
	v_fmac_f32_e32 v123, v6, v12
	s_waitcnt vmcnt(0)
	v_pk_fma_f32 v[2:3], v[4:5], v[10:11], v[2:3] op_sel_hi:[0,1,1]
	scratch_load_dwordx4 v[10:13], off, s0  ; 16-byte Folded Reload
	s_movk_i32 s0, 0x103c
	s_waitcnt vmcnt(0)
	v_pk_fma_f32 v[2:3], v[4:5], v[10:11], v[2:3] op_sel:[1,0,0]
	scratch_load_dwordx4 v[10:13], off, s0  ; 16-byte Folded Reload
	s_movk_i32 s0, 0x109c
	s_waitcnt vmcnt(0)
	v_pk_fma_f32 v[2:3], v[6:7], v[12:13], v[2:3] op_sel_hi:[0,1,1]
	scratch_load_dwordx4 v[10:13], off, s0  ; 16-byte Folded Reload
	s_movk_i32 s0, 0x114c
	scratch_store_dwordx2 off, v[2:3], off offset:3700 ; 8-byte Folded Spill
	scratch_load_dwordx2 v[2:3], off, s0    ; 8-byte Folded Reload
	s_movk_i32 s0, 0x1154
	s_waitcnt vmcnt(2)
	v_fma_f32 v24, v4, v10, v13
	v_fmac_f32_e32 v24, v5, v11
	scratch_load_dwordx2 v[10:11], off, s0  ; 8-byte Folded Reload
	s_movk_i32 s0, 0x102c
	v_fmac_f32_e32 v24, v6, v12
	;; [unrolled: 21-line block ×3, first 2 shown]
	s_waitcnt vmcnt(0)
	v_pk_fma_f32 v[2:3], v[4:5], v[10:11], v[2:3] op_sel_hi:[0,1,1]
	scratch_load_dwordx4 v[10:13], off, s0  ; 16-byte Folded Reload
	s_movk_i32 s0, 0x10bc
	s_waitcnt vmcnt(0)
	v_pk_fma_f32 v[2:3], v[4:5], v[10:11], v[2:3] op_sel:[1,0,0]
	scratch_load_dwordx4 v[10:13], off, off offset:4092 ; 16-byte Folded Reload
	s_waitcnt vmcnt(0)
	v_pk_fma_f32 v[2:3], v[6:7], v[12:13], v[2:3] op_sel_hi:[0,1,1]
	scratch_load_dwordx4 v[10:13], off, s0  ; 16-byte Folded Reload
	s_movk_i32 s0, 0x112c
	scratch_store_dwordx2 off, v[2:3], off offset:3716 ; 8-byte Folded Spill
	scratch_load_dwordx2 v[2:3], off, s0    ; 8-byte Folded Reload
	s_movk_i32 s0, 0x1134
	s_waitcnt vmcnt(2)
	v_fma_f32 v54, v4, v10, v13
	v_fmac_f32_e32 v54, v5, v11
	scratch_load_dwordx2 v[10:11], off, s0  ; 8-byte Folded Reload
	v_fmac_f32_e32 v54, v6, v12
	s_movk_i32 s0, 0x10cc
	s_waitcnt vmcnt(0)
	v_pk_fma_f32 v[2:3], v[4:5], v[10:11], v[2:3] op_sel_hi:[0,1,1]
	scratch_load_dwordx4 v[10:13], off, off offset:4076 ; 16-byte Folded Reload
	s_waitcnt vmcnt(0)
	v_pk_fma_f32 v[2:3], v[4:5], v[10:11], v[2:3] op_sel:[1,0,0]
	scratch_load_dwordx4 v[10:13], off, off offset:4060 ; 16-byte Folded Reload
	s_waitcnt vmcnt(0)
	v_pk_fma_f32 v[2:3], v[6:7], v[12:13], v[2:3] op_sel_hi:[0,1,1]
	scratch_load_dwordx4 v[10:13], off, s0  ; 16-byte Folded Reload
	s_movk_i32 s0, 0x111c
	scratch_store_dwordx2 off, v[2:3], off offset:3724 ; 8-byte Folded Spill
	scratch_load_dwordx2 v[2:3], off, s0    ; 8-byte Folded Reload
	s_movk_i32 s0, 0x1124
	s_waitcnt vmcnt(2)
	v_fma_f32 v55, v4, v10, v13
	v_fmac_f32_e32 v55, v5, v11
	scratch_load_dwordx2 v[10:11], off, s0  ; 8-byte Folded Reload
	v_fmac_f32_e32 v55, v6, v12
	s_movk_i32 s0, 0x10dc
	s_waitcnt vmcnt(0)
	v_pk_fma_f32 v[2:3], v[4:5], v[10:11], v[2:3] op_sel_hi:[0,1,1]
	scratch_load_dwordx4 v[10:13], off, off offset:4044 ; 16-byte Folded Reload
	;; [unrolled: 19-line block ×4, first 2 shown]
	s_waitcnt vmcnt(0)
	v_pk_fma_f32 v[2:3], v[4:5], v[10:11], v[2:3] op_sel:[1,0,0]
	scratch_load_dwordx4 v[10:13], off, off offset:3964 ; 16-byte Folded Reload
	s_waitcnt vmcnt(0)
	v_pk_fma_f32 v[2:3], v[6:7], v[12:13], v[2:3] op_sel_hi:[0,1,1]
	scratch_load_dwordx4 v[10:13], off, s0  ; 16-byte Folded Reload
	s_movk_i32 s0, 0x119c
	scratch_store_dwordx2 off, v[2:3], off offset:3748 ; 8-byte Folded Spill
	scratch_load_dwordx2 v[2:3], off, s0    ; 8-byte Folded Reload
	s_movk_i32 s0, 0x11c4
	s_waitcnt vmcnt(2)
	v_fma_f32 v58, v4, v10, v13
	v_fmac_f32_e32 v58, v5, v11
	scratch_load_dwordx2 v[10:11], off, s0  ; 8-byte Folded Reload
	s_movk_i32 s0, 0x11a4
	v_fmac_f32_e32 v58, v6, v12
	s_waitcnt vmcnt(0)
	v_pk_fma_f32 v[2:3], v[4:5], v[2:3], v[10:11] op_sel_hi:[0,1,1]
	scratch_load_dwordx4 v[10:13], off, s0  ; 16-byte Folded Reload
	s_movk_i32 s0, 0x117c
	s_waitcnt vmcnt(0)
	v_pk_fma_f32 v[2:3], v[4:5], v[10:11], v[2:3] op_sel:[1,0,0]
	scratch_load_dwordx4 v[10:13], off, s0  ; 16-byte Folded Reload
	s_movk_i32 s0, 0x11e4
	s_waitcnt vmcnt(0)
	v_pk_fma_f32 v[2:3], v[6:7], v[12:13], v[2:3] op_sel_hi:[0,1,1]
	scratch_load_dwordx4 v[10:13], off, s0  ; 16-byte Folded Reload
	s_movk_i32 s0, 0x11cc
	scratch_store_dwordx2 off, v[2:3], off offset:3756 ; 8-byte Folded Spill
	scratch_load_dwordx2 v[2:3], off, s0    ; 8-byte Folded Reload
	s_movk_i32 s0, 0x11f4
	s_waitcnt vmcnt(2)
	v_fma_f32 v59, v4, v10, v13
	v_fmac_f32_e32 v59, v5, v11
	scratch_load_dwordx2 v[10:11], off, s0  ; 8-byte Folded Reload
	s_movk_i32 s0, 0x11d4
	v_fmac_f32_e32 v59, v6, v12
	s_waitcnt vmcnt(0)
	v_pk_fma_f32 v[2:3], v[4:5], v[2:3], v[10:11] op_sel_hi:[0,1,1]
	scratch_load_dwordx4 v[10:13], off, s0  ; 16-byte Folded Reload
	s_movk_i32 s0, 0x11b4
	s_waitcnt vmcnt(0)
	v_pk_fma_f32 v[2:3], v[4:5], v[10:11], v[2:3] op_sel:[1,0,0]
	scratch_load_dwordx4 v[10:13], off, s0  ; 16-byte Folded Reload
	s_movk_i32 s0, 0x120c
	;; [unrolled: 21-line block ×24, first 2 shown]
	s_waitcnt vmcnt(0)
	v_pk_fma_f32 v[2:3], v[6:7], v[12:13], v[2:3] op_sel_hi:[0,1,1]
	scratch_load_dwordx4 v[10:13], off, s0  ; 16-byte Folded Reload
	s_movk_i32 s0, 0x17a0
	scratch_store_dwordx2 off, v[2:3], off offset:3940 ; 8-byte Folded Spill
	scratch_load_dwordx2 v[2:3], off, s0    ; 8-byte Folded Reload
	s_movk_i32 s0, 0x17b8
	s_waitcnt vmcnt(2)
	v_fma_f32 v69, v4, v10, v13
	v_fmac_f32_e32 v69, v5, v11
	scratch_load_dwordx2 v[10:11], off, s0  ; 8-byte Folded Reload
	s_movk_i32 s0, 0x17a8
	v_fmac_f32_e32 v69, v6, v12
	s_waitcnt vmcnt(0)
	v_pk_fma_f32 v[2:3], v[4:5], v[2:3], v[10:11] op_sel_hi:[0,1,1]
	scratch_load_dwordx4 v[10:13], off, s0  ; 16-byte Folded Reload
	s_movk_i32 s0, 0x1780
	s_waitcnt vmcnt(0)
	v_pk_fma_f32 v[2:3], v[4:5], v[10:11], v[2:3] op_sel:[1,0,0]
	scratch_load_dwordx4 v[10:13], off, s0  ; 16-byte Folded Reload
	s_waitcnt vmcnt(0)
	v_pk_fma_f32 v[2:3], v[6:7], v[12:13], v[2:3] op_sel_hi:[0,1,1]
	global_load_dwordx4 v[12:15], v[0:1], off
	v_mov_b32_e32 v0, 0x40b00000
	scratch_store_dwordx2 off, v[2:3], off offset:3948 ; 8-byte Folded Spill
	s_waitcnt vmcnt(1)
	v_cmp_gt_f32_e64 s[8:9], 0, v14
	s_nop 1
	v_cndmask_b32_e64 v0, 1.0, v0, s[8:9]
	scratch_store_dword off, v0, off offset:3956 ; 4-byte Folded Spill
	v_mov_b32_e32 v0, 0xff7fffff
	v_cndmask_b32_e64 v0, v0, 1.0, s[8:9]
	scratch_store_dword off, v0, off offset:3960 ; 4-byte Folded Spill
	scratch_load_dwordx4 v[92:95], off, off offset:16
	scratch_load_dwordx4 v[88:91], off, off offset:32
	;; [unrolled: 1-line block ×16, first 2 shown]
	v_cmp_lt_f32_e64 s[2:3], 0, v14
	v_cmp_eq_u32_e64 s[4:5], s37, v12
	v_cmp_eq_u32_e64 s[6:7], s38, v12
.LBB6_28:                               ;   Parent Loop BB6_27 Depth=1
                                        ; =>  This Inner Loop Header: Depth=2
	global_load_dwordx4 v[4:7], v71, s[30:31] offset:-8
	s_waitcnt vmcnt(0)
	v_ashrrev_i32_e32 v1, 31, v7
	v_mov_b32_e32 v0, v7
	v_lshlrev_b64 v[0:1], 4, v[0:1]
	v_lshl_add_u64 v[0:1], s[22:23], 0, v[0:1]
	global_load_dwordx4 v[72:75], v[0:1], off
	s_waitcnt vmcnt(0)
	v_add_f32_e32 v8, v13, v73
	v_div_scale_f32 v0, s[0:1], v8, v8, 1.0
	v_rcp_f32_e32 v1, v0
	v_cmp_lt_f32_e64 s[0:1], 0, v74
	s_and_b64 s[0:1], s[0:1], s[8:9]
	v_cmp_neq_f32_e64 s[10:11], 0, v74
	v_fma_f32 v2, -v0, v1, 1.0
	v_fmac_f32_e32 v1, v2, v1
	v_div_scale_f32 v2, vcc, 1.0, v8, 1.0
	v_mul_f32_e32 v3, v2, v1
	v_fma_f32 v7, -v0, v3, v2
	v_fmac_f32_e32 v3, v7, v1
	v_fma_f32 v0, -v0, v3, v2
	scratch_load_dword v2, off, off offset:3956 ; 4-byte Folded Reload
	scratch_load_dword v10, off, off offset:3960 ; 4-byte Folded Reload
	v_div_fmas_f32 v0, v0, v1, v3
	v_cmp_eq_u32_e32 vcc, s37, v72
	v_div_fixup_f32 v62, v0, v8, 1.0
	s_and_b64 vcc, vcc, s[4:5]
	v_mov_b32_e32 v0, 0x3e800000
	v_cndmask_b32_e64 v1, 2.0, 4.0, vcc
	v_cndmask_b32_e32 v0, 0.5, v0, vcc
	v_cmp_eq_u32_e32 vcc, s38, v72
	s_or_b64 s[34:35], vcc, s[6:7]
	v_cmp_gt_f32_e32 vcc, 0, v74
	v_cndmask_b32_e64 v7, v14, -v14, s[0:1]
	s_and_b64 s[12:13], vcc, s[2:3]
	v_cndmask_b32_e64 v3, v74, -v74, s[12:13]
	scratch_load_dwordx2 v[72:73], off, off offset:3700 ; 8-byte Folded Reload
	s_waitcnt vmcnt(1)
	v_cndmask_b32_e32 v70, v10, v2, vcc
	v_div_scale_f32 v2, s[0:1], v70, v70, 1.0
	v_rcp_f32_e32 v10, v2
	s_nop 0
	v_fma_f32 v11, -v2, v10, 1.0
	v_fmac_f32_e32 v10, v11, v10
	v_div_scale_f32 v11, vcc, 1.0, v70, 1.0
	v_mul_f32_e32 v12, v11, v10
	v_fma_f32 v60, -v2, v12, v11
	v_fmac_f32_e32 v12, v60, v10
	v_fma_f32 v2, -v2, v12, v11
	v_div_fmas_f32 v2, v2, v10, v12
	v_add_f32_e32 v12, v3, v7
	v_mov_b32_e32 v11, v6
	scratch_load_dwordx2 v[6:7], off, off offset:3692 ; 8-byte Folded Reload
	v_mov_b32_e32 v10, v4
	v_sub_f32_e32 v3, v122, v5
	v_mul_f32_e32 v60, v15, v75
	v_div_fixup_f32 v2, v2, v70, 1.0
	s_waitcnt vmcnt(1)
	v_pk_add_f32 v[72:73], v[72:73], v[10:11] neg_lo:[0,1] neg_hi:[0,1]
	s_waitcnt vmcnt(0)
	v_pk_add_f32 v[6:7], v[6:7], v[10:11] neg_lo:[0,1] neg_hi:[0,1]
	s_nop 0
	v_pk_mul_f32 v[6:7], v[6:7], v[6:7]
	v_pk_mul_f32 v[72:73], v[72:73], v[72:73]
	v_fma_f32 v3, v3, v3, v6
	v_add_f32_e32 v3, v3, v7
	v_cmp_gt_f32_e32 vcc, s39, v3
	v_mul_f32_e32 v4, 0x4f800000, v3
	s_nop 0
	v_cndmask_b32_e32 v3, v3, v4, vcc
	v_sqrt_f32_e32 v4, v3
	s_nop 0
	v_add_u32_e32 v6, -1, v4
	v_fma_f32 v7, -v6, v4, v3
	v_cmp_ge_f32_e64 s[0:1], 0, v7
	v_add_u32_e32 v7, 1, v4
	s_nop 0
	v_cndmask_b32_e64 v6, v4, v6, s[0:1]
	v_fma_f32 v4, -v7, v4, v3
	v_cmp_lt_f32_e64 s[0:1], 0, v4
	s_nop 1
	v_cndmask_b32_e64 v4, v6, v7, s[0:1]
	v_mul_f32_e32 v6, 0x37800000, v4
	v_cndmask_b32_e32 v4, v4, v6, vcc
	v_cmp_class_f32_e32 vcc, v3, v9
	s_nop 1
	v_cndmask_b32_e32 v6, v4, v3, vcc
	v_sub_f32_e32 v3, v123, v5
	v_fma_f32 v3, v3, v3, v72
	v_add_f32_e32 v3, v3, v73
	v_cmp_gt_f32_e32 vcc, s39, v3
	v_mul_f32_e32 v4, 0x4f800000, v3
	s_nop 0
	v_cndmask_b32_e32 v3, v3, v4, vcc
	v_sqrt_f32_e32 v4, v3
	s_nop 0
	v_add_u32_e32 v7, -1, v4
	v_fma_f32 v72, -v7, v4, v3
	v_cmp_ge_f32_e64 s[0:1], 0, v72
	v_add_u32_e32 v72, 1, v4
	s_nop 0
	v_cndmask_b32_e64 v7, v4, v7, s[0:1]
	v_fma_f32 v4, -v72, v4, v3
	v_cmp_lt_f32_e64 s[0:1], 0, v4
	s_nop 1
	v_cndmask_b32_e64 v4, v7, v72, s[0:1]
	v_mul_f32_e32 v7, 0x37800000, v4
	v_cndmask_b32_e32 v4, v4, v7, vcc
	v_cmp_class_f32_e32 vcc, v3, v9
	s_nop 1
	v_cndmask_b32_e32 v7, v4, v3, vcc
	v_pk_add_f32 v[72:73], v[6:7], v[8:9] op_sel_hi:[1,0] neg_lo:[0,1] neg_hi:[0,1]
	v_pk_fma_f32 v[6:7], v[62:63], v[6:7], 1.0 op_sel_hi:[0,1,0] neg_lo:[1,0,0] neg_hi:[1,0,0]
	v_cmp_gt_f32_e32 vcc, 0, v72
	v_cmp_gt_f32_e64 s[0:1], 0, v73
	v_cmp_lt_f32_e64 s[12:13], v72, v1
	v_cndmask_b32_e32 v74, 0, v61, vcc
	v_cndmask_b32_e64 v75, 0, v61, s[0:1]
	v_pk_fma_f32 v[6:7], v[6:7], v[74:75], v[92:93]
	v_pk_fma_f32 v[74:75], v[0:1], v[72:73], 1.0 op_sel_hi:[0,1,0] neg_lo:[1,0,0] neg_hi:[1,0,0]
	v_cmp_lt_f32_e64 s[16:17], v73, v1
	v_cndmask_b32_e64 v75, v75, 1.0, s[0:1]
	v_cndmask_b32_e64 v74, v74, 1.0, vcc
	v_cndmask_b32_e64 v93, 0, 1.0, s[16:17]
	v_cndmask_b32_e64 v92, 0, 1.0, s[12:13]
	v_pk_mul_f32 v[74:75], v[92:93], v[74:75]
	v_cmp_lt_f32_e64 s[12:13], v73, v70
	v_pk_mul_f32 v[74:75], v[60:61], v[74:75] op_sel_hi:[0,1]
	v_cmp_lt_f32_e64 s[16:17], v72, v70
	v_cndmask_b32_e64 v75, v75, -|v75|, s[34:35]
	v_cndmask_b32_e64 v74, v74, -|v74|, s[34:35]
	s_and_b64 s[16:17], s[10:11], s[16:17]
	s_and_b64 s[12:13], s[10:11], s[12:13]
	v_pk_fma_f32 v[6:7], v[74:75], s[28:29], v[6:7] op_sel_hi:[1,0,1]
	v_pk_fma_f32 v[74:75], v[2:3], v[72:73], 1.0 op_sel_hi:[0,1,0] neg_lo:[1,0,0] neg_hi:[1,0,0]
	v_cndmask_b32_e64 v73, 0, 1.0, s[12:13]
	v_cndmask_b32_e64 v72, 0, 1.0, s[16:17]
	v_pk_mul_f32 v[72:73], v[12:13], v[72:73] op_sel_hi:[0,1]
	v_cndmask_b32_e64 v75, v75, 1.0, s[0:1]
	v_cndmask_b32_e64 v74, v74, 1.0, vcc
	v_pk_fma_f32 v[92:93], v[74:75], v[72:73], v[6:7]
	scratch_load_dwordx2 v[6:7], off, off offset:3708 ; 8-byte Folded Reload
	scratch_load_dwordx2 v[72:73], off, off offset:3716 ; 8-byte Folded Reload
	v_sub_f32_e32 v3, v24, v5
	s_waitcnt vmcnt(1)
	v_pk_add_f32 v[6:7], v[6:7], v[10:11] neg_lo:[0,1] neg_hi:[0,1]
	s_nop 0
	v_pk_mul_f32 v[6:7], v[6:7], v[6:7]
	s_waitcnt vmcnt(0)
	v_pk_add_f32 v[72:73], v[72:73], v[10:11] neg_lo:[0,1] neg_hi:[0,1]
	v_fma_f32 v3, v3, v3, v6
	v_add_f32_e32 v3, v3, v7
	v_cmp_gt_f32_e32 vcc, s39, v3
	v_mul_f32_e32 v4, 0x4f800000, v3
	v_pk_mul_f32 v[72:73], v[72:73], v[72:73]
	v_cndmask_b32_e32 v3, v3, v4, vcc
	v_sqrt_f32_e32 v4, v3
	s_nop 0
	v_add_u32_e32 v6, -1, v4
	v_fma_f32 v7, -v6, v4, v3
	v_cmp_ge_f32_e64 s[0:1], 0, v7
	v_add_u32_e32 v7, 1, v4
	s_nop 0
	v_cndmask_b32_e64 v6, v4, v6, s[0:1]
	v_fma_f32 v4, -v7, v4, v3
	v_cmp_lt_f32_e64 s[0:1], 0, v4
	s_nop 1
	v_cndmask_b32_e64 v4, v6, v7, s[0:1]
	v_mul_f32_e32 v6, 0x37800000, v4
	v_cndmask_b32_e32 v4, v4, v6, vcc
	v_cmp_class_f32_e32 vcc, v3, v9
	s_nop 1
	v_cndmask_b32_e32 v6, v4, v3, vcc
	v_sub_f32_e32 v3, v25, v5
	v_fma_f32 v3, v3, v3, v72
	v_add_f32_e32 v3, v3, v73
	v_cmp_gt_f32_e32 vcc, s39, v3
	v_mul_f32_e32 v4, 0x4f800000, v3
	s_nop 0
	v_cndmask_b32_e32 v3, v3, v4, vcc
	v_sqrt_f32_e32 v4, v3
	s_nop 0
	v_add_u32_e32 v7, -1, v4
	v_fma_f32 v72, -v7, v4, v3
	v_cmp_ge_f32_e64 s[0:1], 0, v72
	v_add_u32_e32 v72, 1, v4
	s_nop 0
	v_cndmask_b32_e64 v7, v4, v7, s[0:1]
	v_fma_f32 v4, -v72, v4, v3
	v_cmp_lt_f32_e64 s[0:1], 0, v4
	s_nop 1
	v_cndmask_b32_e64 v4, v7, v72, s[0:1]
	v_mul_f32_e32 v7, 0x37800000, v4
	v_cndmask_b32_e32 v4, v4, v7, vcc
	v_cmp_class_f32_e32 vcc, v3, v9
	s_nop 1
	v_cndmask_b32_e32 v7, v4, v3, vcc
	v_pk_add_f32 v[72:73], v[6:7], v[8:9] op_sel_hi:[1,0] neg_lo:[0,1] neg_hi:[0,1]
	v_pk_fma_f32 v[6:7], v[62:63], v[6:7], 1.0 op_sel_hi:[0,1,0] neg_lo:[1,0,0] neg_hi:[1,0,0]
	v_cmp_gt_f32_e32 vcc, 0, v72
	v_cmp_gt_f32_e64 s[0:1], 0, v73
	v_cmp_lt_f32_e64 s[12:13], v72, v1
	v_cndmask_b32_e32 v74, 0, v61, vcc
	v_cndmask_b32_e64 v75, 0, v61, s[0:1]
	v_pk_fma_f32 v[6:7], v[6:7], v[74:75], v[94:95]
	v_pk_fma_f32 v[74:75], v[0:1], v[72:73], 1.0 op_sel_hi:[0,1,0] neg_lo:[1,0,0] neg_hi:[1,0,0]
	v_cmp_lt_f32_e64 s[16:17], v73, v1
	v_cndmask_b32_e64 v75, v75, 1.0, s[0:1]
	v_cndmask_b32_e64 v74, v74, 1.0, vcc
	v_cndmask_b32_e64 v95, 0, 1.0, s[16:17]
	v_cndmask_b32_e64 v94, 0, 1.0, s[12:13]
	v_pk_mul_f32 v[74:75], v[94:95], v[74:75]
	v_cmp_lt_f32_e64 s[12:13], v73, v70
	v_pk_mul_f32 v[74:75], v[60:61], v[74:75] op_sel_hi:[0,1]
	v_cmp_lt_f32_e64 s[16:17], v72, v70
	v_cndmask_b32_e64 v75, v75, -|v75|, s[34:35]
	v_cndmask_b32_e64 v74, v74, -|v74|, s[34:35]
	s_and_b64 s[16:17], s[10:11], s[16:17]
	s_and_b64 s[12:13], s[10:11], s[12:13]
	v_pk_fma_f32 v[6:7], v[74:75], s[28:29], v[6:7] op_sel_hi:[1,0,1]
	v_pk_fma_f32 v[74:75], v[2:3], v[72:73], 1.0 op_sel_hi:[0,1,0] neg_lo:[1,0,0] neg_hi:[1,0,0]
	v_cndmask_b32_e64 v73, 0, 1.0, s[12:13]
	v_cndmask_b32_e64 v72, 0, 1.0, s[16:17]
	v_pk_mul_f32 v[72:73], v[12:13], v[72:73] op_sel_hi:[0,1]
	v_cndmask_b32_e64 v75, v75, 1.0, s[0:1]
	v_cndmask_b32_e64 v74, v74, 1.0, vcc
	v_pk_fma_f32 v[94:95], v[74:75], v[72:73], v[6:7]
	scratch_load_dwordx2 v[6:7], off, off offset:3724 ; 8-byte Folded Reload
	scratch_load_dwordx2 v[72:73], off, off offset:3732 ; 8-byte Folded Reload
	v_sub_f32_e32 v3, v54, v5
	s_waitcnt vmcnt(1)
	v_pk_add_f32 v[6:7], v[6:7], v[10:11] neg_lo:[0,1] neg_hi:[0,1]
	s_nop 0
	v_pk_mul_f32 v[6:7], v[6:7], v[6:7]
	s_waitcnt vmcnt(0)
	v_pk_add_f32 v[72:73], v[72:73], v[10:11] neg_lo:[0,1] neg_hi:[0,1]
	v_fma_f32 v3, v3, v3, v6
	v_add_f32_e32 v3, v3, v7
	v_cmp_gt_f32_e32 vcc, s39, v3
	v_mul_f32_e32 v4, 0x4f800000, v3
	v_pk_mul_f32 v[72:73], v[72:73], v[72:73]
	v_cndmask_b32_e32 v3, v3, v4, vcc
	v_sqrt_f32_e32 v4, v3
	s_nop 0
	v_add_u32_e32 v6, -1, v4
	v_fma_f32 v7, -v6, v4, v3
	v_cmp_ge_f32_e64 s[0:1], 0, v7
	v_add_u32_e32 v7, 1, v4
	s_nop 0
	v_cndmask_b32_e64 v6, v4, v6, s[0:1]
	v_fma_f32 v4, -v7, v4, v3
	v_cmp_lt_f32_e64 s[0:1], 0, v4
	s_nop 1
	v_cndmask_b32_e64 v4, v6, v7, s[0:1]
	v_mul_f32_e32 v6, 0x37800000, v4
	v_cndmask_b32_e32 v4, v4, v6, vcc
	v_cmp_class_f32_e32 vcc, v3, v9
	s_nop 1
	v_cndmask_b32_e32 v6, v4, v3, vcc
	v_sub_f32_e32 v3, v55, v5
	v_fma_f32 v3, v3, v3, v72
	v_add_f32_e32 v3, v3, v73
	v_cmp_gt_f32_e32 vcc, s39, v3
	v_mul_f32_e32 v4, 0x4f800000, v3
	s_nop 0
	v_cndmask_b32_e32 v3, v3, v4, vcc
	v_sqrt_f32_e32 v4, v3
	s_nop 0
	v_add_u32_e32 v7, -1, v4
	v_fma_f32 v72, -v7, v4, v3
	v_cmp_ge_f32_e64 s[0:1], 0, v72
	v_add_u32_e32 v72, 1, v4
	s_nop 0
	v_cndmask_b32_e64 v7, v4, v7, s[0:1]
	v_fma_f32 v4, -v72, v4, v3
	v_cmp_lt_f32_e64 s[0:1], 0, v4
	s_nop 1
	v_cndmask_b32_e64 v4, v7, v72, s[0:1]
	v_mul_f32_e32 v7, 0x37800000, v4
	v_cndmask_b32_e32 v4, v4, v7, vcc
	v_cmp_class_f32_e32 vcc, v3, v9
	s_nop 1
	v_cndmask_b32_e32 v7, v4, v3, vcc
	v_pk_add_f32 v[72:73], v[6:7], v[8:9] op_sel_hi:[1,0] neg_lo:[0,1] neg_hi:[0,1]
	v_pk_fma_f32 v[6:7], v[62:63], v[6:7], 1.0 op_sel_hi:[0,1,0] neg_lo:[1,0,0] neg_hi:[1,0,0]
	v_cmp_gt_f32_e32 vcc, 0, v72
	v_cmp_gt_f32_e64 s[0:1], 0, v73
	v_cmp_lt_f32_e64 s[12:13], v72, v1
	v_cndmask_b32_e32 v74, 0, v61, vcc
	v_cndmask_b32_e64 v75, 0, v61, s[0:1]
	v_pk_fma_f32 v[6:7], v[6:7], v[74:75], v[88:89]
	v_pk_fma_f32 v[74:75], v[0:1], v[72:73], 1.0 op_sel_hi:[0,1,0] neg_lo:[1,0,0] neg_hi:[1,0,0]
	v_cmp_lt_f32_e64 s[16:17], v73, v1
	v_cndmask_b32_e64 v75, v75, 1.0, s[0:1]
	v_cndmask_b32_e64 v74, v74, 1.0, vcc
	v_cndmask_b32_e64 v89, 0, 1.0, s[16:17]
	v_cndmask_b32_e64 v88, 0, 1.0, s[12:13]
	v_pk_mul_f32 v[74:75], v[88:89], v[74:75]
	v_cmp_lt_f32_e64 s[12:13], v73, v70
	v_pk_mul_f32 v[74:75], v[60:61], v[74:75] op_sel_hi:[0,1]
	v_cmp_lt_f32_e64 s[16:17], v72, v70
	v_cndmask_b32_e64 v75, v75, -|v75|, s[34:35]
	v_cndmask_b32_e64 v74, v74, -|v74|, s[34:35]
	s_and_b64 s[16:17], s[10:11], s[16:17]
	s_and_b64 s[12:13], s[10:11], s[12:13]
	v_pk_fma_f32 v[6:7], v[74:75], s[28:29], v[6:7] op_sel_hi:[1,0,1]
	v_pk_fma_f32 v[74:75], v[2:3], v[72:73], 1.0 op_sel_hi:[0,1,0] neg_lo:[1,0,0] neg_hi:[1,0,0]
	v_cndmask_b32_e64 v73, 0, 1.0, s[12:13]
	v_cndmask_b32_e64 v72, 0, 1.0, s[16:17]
	v_pk_mul_f32 v[72:73], v[12:13], v[72:73] op_sel_hi:[0,1]
	v_cndmask_b32_e64 v75, v75, 1.0, s[0:1]
	v_cndmask_b32_e64 v74, v74, 1.0, vcc
	v_pk_fma_f32 v[88:89], v[74:75], v[72:73], v[6:7]
	scratch_load_dwordx2 v[6:7], off, off offset:3740 ; 8-byte Folded Reload
	scratch_load_dwordx2 v[72:73], off, off offset:3748 ; 8-byte Folded Reload
	v_sub_f32_e32 v3, v56, v5
	s_waitcnt vmcnt(1)
	v_pk_add_f32 v[6:7], v[6:7], v[10:11] neg_lo:[0,1] neg_hi:[0,1]
	s_nop 0
	v_pk_mul_f32 v[6:7], v[6:7], v[6:7]
	s_waitcnt vmcnt(0)
	v_pk_add_f32 v[72:73], v[72:73], v[10:11] neg_lo:[0,1] neg_hi:[0,1]
	v_fma_f32 v3, v3, v3, v6
	v_add_f32_e32 v3, v3, v7
	v_cmp_gt_f32_e32 vcc, s39, v3
	v_mul_f32_e32 v4, 0x4f800000, v3
	v_pk_mul_f32 v[72:73], v[72:73], v[72:73]
	v_cndmask_b32_e32 v3, v3, v4, vcc
	v_sqrt_f32_e32 v4, v3
	s_nop 0
	v_add_u32_e32 v6, -1, v4
	v_fma_f32 v7, -v6, v4, v3
	v_cmp_ge_f32_e64 s[0:1], 0, v7
	v_add_u32_e32 v7, 1, v4
	s_nop 0
	v_cndmask_b32_e64 v6, v4, v6, s[0:1]
	v_fma_f32 v4, -v7, v4, v3
	v_cmp_lt_f32_e64 s[0:1], 0, v4
	s_nop 1
	v_cndmask_b32_e64 v4, v6, v7, s[0:1]
	v_mul_f32_e32 v6, 0x37800000, v4
	v_cndmask_b32_e32 v4, v4, v6, vcc
	v_cmp_class_f32_e32 vcc, v3, v9
	s_nop 1
	v_cndmask_b32_e32 v6, v4, v3, vcc
	v_sub_f32_e32 v3, v57, v5
	v_fma_f32 v3, v3, v3, v72
	v_add_f32_e32 v3, v3, v73
	v_cmp_gt_f32_e32 vcc, s39, v3
	v_mul_f32_e32 v4, 0x4f800000, v3
	s_nop 0
	v_cndmask_b32_e32 v3, v3, v4, vcc
	v_sqrt_f32_e32 v4, v3
	s_nop 0
	v_add_u32_e32 v7, -1, v4
	v_fma_f32 v72, -v7, v4, v3
	v_cmp_ge_f32_e64 s[0:1], 0, v72
	v_add_u32_e32 v72, 1, v4
	s_nop 0
	v_cndmask_b32_e64 v7, v4, v7, s[0:1]
	v_fma_f32 v4, -v72, v4, v3
	v_cmp_lt_f32_e64 s[0:1], 0, v4
	s_nop 1
	v_cndmask_b32_e64 v4, v7, v72, s[0:1]
	v_mul_f32_e32 v7, 0x37800000, v4
	v_cndmask_b32_e32 v4, v4, v7, vcc
	v_cmp_class_f32_e32 vcc, v3, v9
	s_nop 1
	v_cndmask_b32_e32 v7, v4, v3, vcc
	v_pk_add_f32 v[72:73], v[6:7], v[8:9] op_sel_hi:[1,0] neg_lo:[0,1] neg_hi:[0,1]
	v_pk_fma_f32 v[6:7], v[62:63], v[6:7], 1.0 op_sel_hi:[0,1,0] neg_lo:[1,0,0] neg_hi:[1,0,0]
	v_cmp_gt_f32_e32 vcc, 0, v72
	v_cmp_gt_f32_e64 s[0:1], 0, v73
	v_cmp_lt_f32_e64 s[12:13], v72, v1
	v_cndmask_b32_e32 v74, 0, v61, vcc
	v_cndmask_b32_e64 v75, 0, v61, s[0:1]
	v_pk_fma_f32 v[6:7], v[6:7], v[74:75], v[90:91]
	v_pk_fma_f32 v[74:75], v[0:1], v[72:73], 1.0 op_sel_hi:[0,1,0] neg_lo:[1,0,0] neg_hi:[1,0,0]
	v_cmp_lt_f32_e64 s[16:17], v73, v1
	v_cndmask_b32_e64 v75, v75, 1.0, s[0:1]
	v_cndmask_b32_e64 v74, v74, 1.0, vcc
	v_cndmask_b32_e64 v91, 0, 1.0, s[16:17]
	v_cndmask_b32_e64 v90, 0, 1.0, s[12:13]
	v_pk_mul_f32 v[74:75], v[90:91], v[74:75]
	v_cmp_lt_f32_e64 s[12:13], v73, v70
	v_pk_mul_f32 v[74:75], v[60:61], v[74:75] op_sel_hi:[0,1]
	v_cmp_lt_f32_e64 s[16:17], v72, v70
	v_cndmask_b32_e64 v75, v75, -|v75|, s[34:35]
	v_cndmask_b32_e64 v74, v74, -|v74|, s[34:35]
	s_and_b64 s[16:17], s[10:11], s[16:17]
	s_and_b64 s[12:13], s[10:11], s[12:13]
	v_pk_fma_f32 v[6:7], v[74:75], s[28:29], v[6:7] op_sel_hi:[1,0,1]
	v_pk_fma_f32 v[74:75], v[2:3], v[72:73], 1.0 op_sel_hi:[0,1,0] neg_lo:[1,0,0] neg_hi:[1,0,0]
	v_cndmask_b32_e64 v73, 0, 1.0, s[12:13]
	v_cndmask_b32_e64 v72, 0, 1.0, s[16:17]
	v_pk_mul_f32 v[72:73], v[12:13], v[72:73] op_sel_hi:[0,1]
	v_cndmask_b32_e64 v75, v75, 1.0, s[0:1]
	v_cndmask_b32_e64 v74, v74, 1.0, vcc
	v_pk_fma_f32 v[90:91], v[74:75], v[72:73], v[6:7]
	scratch_load_dwordx2 v[6:7], off, off offset:3756 ; 8-byte Folded Reload
	scratch_load_dwordx2 v[72:73], off, off offset:3764 ; 8-byte Folded Reload
	v_sub_f32_e32 v3, v58, v5
	s_waitcnt vmcnt(1)
	v_pk_add_f32 v[6:7], v[6:7], v[10:11] neg_lo:[0,1] neg_hi:[0,1]
	s_nop 0
	v_pk_mul_f32 v[6:7], v[6:7], v[6:7]
	s_waitcnt vmcnt(0)
	v_pk_add_f32 v[72:73], v[72:73], v[10:11] neg_lo:[0,1] neg_hi:[0,1]
	v_fma_f32 v3, v3, v3, v6
	v_add_f32_e32 v3, v3, v7
	v_cmp_gt_f32_e32 vcc, s39, v3
	v_mul_f32_e32 v4, 0x4f800000, v3
	v_pk_mul_f32 v[72:73], v[72:73], v[72:73]
	v_cndmask_b32_e32 v3, v3, v4, vcc
	v_sqrt_f32_e32 v4, v3
	s_nop 0
	v_add_u32_e32 v6, -1, v4
	v_fma_f32 v7, -v6, v4, v3
	v_cmp_ge_f32_e64 s[0:1], 0, v7
	v_add_u32_e32 v7, 1, v4
	s_nop 0
	v_cndmask_b32_e64 v6, v4, v6, s[0:1]
	v_fma_f32 v4, -v7, v4, v3
	v_cmp_lt_f32_e64 s[0:1], 0, v4
	s_nop 1
	v_cndmask_b32_e64 v4, v6, v7, s[0:1]
	v_mul_f32_e32 v6, 0x37800000, v4
	v_cndmask_b32_e32 v4, v4, v6, vcc
	v_cmp_class_f32_e32 vcc, v3, v9
	s_nop 1
	v_cndmask_b32_e32 v6, v4, v3, vcc
	v_sub_f32_e32 v3, v59, v5
	v_fma_f32 v3, v3, v3, v72
	v_add_f32_e32 v3, v3, v73
	v_cmp_gt_f32_e32 vcc, s39, v3
	v_mul_f32_e32 v4, 0x4f800000, v3
	s_nop 0
	v_cndmask_b32_e32 v3, v3, v4, vcc
	v_sqrt_f32_e32 v4, v3
	s_nop 0
	v_add_u32_e32 v7, -1, v4
	v_fma_f32 v72, -v7, v4, v3
	v_cmp_ge_f32_e64 s[0:1], 0, v72
	v_add_u32_e32 v72, 1, v4
	s_nop 0
	v_cndmask_b32_e64 v7, v4, v7, s[0:1]
	v_fma_f32 v4, -v72, v4, v3
	v_cmp_lt_f32_e64 s[0:1], 0, v4
	s_nop 1
	v_cndmask_b32_e64 v4, v7, v72, s[0:1]
	v_mul_f32_e32 v7, 0x37800000, v4
	v_cndmask_b32_e32 v4, v4, v7, vcc
	v_cmp_class_f32_e32 vcc, v3, v9
	s_nop 1
	v_cndmask_b32_e32 v7, v4, v3, vcc
	v_pk_add_f32 v[72:73], v[6:7], v[8:9] op_sel_hi:[1,0] neg_lo:[0,1] neg_hi:[0,1]
	v_pk_fma_f32 v[6:7], v[62:63], v[6:7], 1.0 op_sel_hi:[0,1,0] neg_lo:[1,0,0] neg_hi:[1,0,0]
	v_cmp_gt_f32_e32 vcc, 0, v72
	v_cmp_gt_f32_e64 s[0:1], 0, v73
	v_cmp_lt_f32_e64 s[12:13], v72, v1
	v_cndmask_b32_e32 v74, 0, v61, vcc
	v_cndmask_b32_e64 v75, 0, v61, s[0:1]
	v_pk_fma_f32 v[6:7], v[6:7], v[74:75], v[84:85]
	v_pk_fma_f32 v[74:75], v[0:1], v[72:73], 1.0 op_sel_hi:[0,1,0] neg_lo:[1,0,0] neg_hi:[1,0,0]
	v_cmp_lt_f32_e64 s[16:17], v73, v1
	v_cndmask_b32_e64 v75, v75, 1.0, s[0:1]
	v_cndmask_b32_e64 v74, v74, 1.0, vcc
	v_cndmask_b32_e64 v85, 0, 1.0, s[16:17]
	v_cndmask_b32_e64 v84, 0, 1.0, s[12:13]
	v_pk_mul_f32 v[74:75], v[84:85], v[74:75]
	v_cmp_lt_f32_e64 s[12:13], v73, v70
	v_pk_mul_f32 v[74:75], v[60:61], v[74:75] op_sel_hi:[0,1]
	v_cmp_lt_f32_e64 s[16:17], v72, v70
	v_cndmask_b32_e64 v75, v75, -|v75|, s[34:35]
	v_cndmask_b32_e64 v74, v74, -|v74|, s[34:35]
	s_and_b64 s[16:17], s[10:11], s[16:17]
	s_and_b64 s[12:13], s[10:11], s[12:13]
	v_pk_fma_f32 v[6:7], v[74:75], s[28:29], v[6:7] op_sel_hi:[1,0,1]
	v_pk_fma_f32 v[74:75], v[2:3], v[72:73], 1.0 op_sel_hi:[0,1,0] neg_lo:[1,0,0] neg_hi:[1,0,0]
	v_cndmask_b32_e64 v73, 0, 1.0, s[12:13]
	v_cndmask_b32_e64 v72, 0, 1.0, s[16:17]
	v_pk_mul_f32 v[72:73], v[12:13], v[72:73] op_sel_hi:[0,1]
	v_cndmask_b32_e64 v75, v75, 1.0, s[0:1]
	v_cndmask_b32_e64 v74, v74, 1.0, vcc
	v_pk_fma_f32 v[84:85], v[74:75], v[72:73], v[6:7]
	scratch_load_dwordx2 v[6:7], off, off offset:3772 ; 8-byte Folded Reload
	scratch_load_dwordx2 v[72:73], off, off offset:3780 ; 8-byte Folded Reload
	v_sub_f32_e32 v3, v106, v5
	s_waitcnt vmcnt(1)
	v_pk_add_f32 v[6:7], v[6:7], v[10:11] neg_lo:[0,1] neg_hi:[0,1]
	s_nop 0
	v_pk_mul_f32 v[6:7], v[6:7], v[6:7]
	s_waitcnt vmcnt(0)
	v_pk_add_f32 v[72:73], v[72:73], v[10:11] neg_lo:[0,1] neg_hi:[0,1]
	v_fma_f32 v3, v3, v3, v6
	v_add_f32_e32 v3, v3, v7
	v_cmp_gt_f32_e32 vcc, s39, v3
	v_mul_f32_e32 v4, 0x4f800000, v3
	v_pk_mul_f32 v[72:73], v[72:73], v[72:73]
	v_cndmask_b32_e32 v3, v3, v4, vcc
	v_sqrt_f32_e32 v4, v3
	s_nop 0
	v_add_u32_e32 v6, -1, v4
	v_fma_f32 v7, -v6, v4, v3
	v_cmp_ge_f32_e64 s[0:1], 0, v7
	v_add_u32_e32 v7, 1, v4
	s_nop 0
	v_cndmask_b32_e64 v6, v4, v6, s[0:1]
	v_fma_f32 v4, -v7, v4, v3
	v_cmp_lt_f32_e64 s[0:1], 0, v4
	s_nop 1
	v_cndmask_b32_e64 v4, v6, v7, s[0:1]
	v_mul_f32_e32 v6, 0x37800000, v4
	v_cndmask_b32_e32 v4, v4, v6, vcc
	v_cmp_class_f32_e32 vcc, v3, v9
	s_nop 1
	v_cndmask_b32_e32 v6, v4, v3, vcc
	v_sub_f32_e32 v3, v107, v5
	v_fma_f32 v3, v3, v3, v72
	v_add_f32_e32 v3, v3, v73
	v_cmp_gt_f32_e32 vcc, s39, v3
	v_mul_f32_e32 v4, 0x4f800000, v3
	s_nop 0
	v_cndmask_b32_e32 v3, v3, v4, vcc
	v_sqrt_f32_e32 v4, v3
	s_nop 0
	v_add_u32_e32 v7, -1, v4
	v_fma_f32 v72, -v7, v4, v3
	v_cmp_ge_f32_e64 s[0:1], 0, v72
	v_add_u32_e32 v72, 1, v4
	s_nop 0
	v_cndmask_b32_e64 v7, v4, v7, s[0:1]
	v_fma_f32 v4, -v72, v4, v3
	v_cmp_lt_f32_e64 s[0:1], 0, v4
	s_nop 1
	v_cndmask_b32_e64 v4, v7, v72, s[0:1]
	v_mul_f32_e32 v7, 0x37800000, v4
	v_cndmask_b32_e32 v4, v4, v7, vcc
	v_cmp_class_f32_e32 vcc, v3, v9
	s_nop 1
	v_cndmask_b32_e32 v7, v4, v3, vcc
	v_pk_add_f32 v[72:73], v[6:7], v[8:9] op_sel_hi:[1,0] neg_lo:[0,1] neg_hi:[0,1]
	v_pk_fma_f32 v[6:7], v[62:63], v[6:7], 1.0 op_sel_hi:[0,1,0] neg_lo:[1,0,0] neg_hi:[1,0,0]
	v_cmp_gt_f32_e32 vcc, 0, v72
	v_cmp_gt_f32_e64 s[0:1], 0, v73
	v_cmp_lt_f32_e64 s[12:13], v72, v1
	v_cndmask_b32_e32 v74, 0, v61, vcc
	v_cndmask_b32_e64 v75, 0, v61, s[0:1]
	v_pk_fma_f32 v[6:7], v[6:7], v[74:75], v[86:87]
	v_pk_fma_f32 v[74:75], v[0:1], v[72:73], 1.0 op_sel_hi:[0,1,0] neg_lo:[1,0,0] neg_hi:[1,0,0]
	v_cmp_lt_f32_e64 s[16:17], v73, v1
	v_cndmask_b32_e64 v75, v75, 1.0, s[0:1]
	v_cndmask_b32_e64 v74, v74, 1.0, vcc
	v_cndmask_b32_e64 v87, 0, 1.0, s[16:17]
	v_cndmask_b32_e64 v86, 0, 1.0, s[12:13]
	v_pk_mul_f32 v[74:75], v[86:87], v[74:75]
	v_cmp_lt_f32_e64 s[12:13], v73, v70
	v_pk_mul_f32 v[74:75], v[60:61], v[74:75] op_sel_hi:[0,1]
	v_cmp_lt_f32_e64 s[16:17], v72, v70
	v_cndmask_b32_e64 v75, v75, -|v75|, s[34:35]
	v_cndmask_b32_e64 v74, v74, -|v74|, s[34:35]
	s_and_b64 s[16:17], s[10:11], s[16:17]
	s_and_b64 s[12:13], s[10:11], s[12:13]
	v_pk_fma_f32 v[6:7], v[74:75], s[28:29], v[6:7] op_sel_hi:[1,0,1]
	v_pk_fma_f32 v[74:75], v[2:3], v[72:73], 1.0 op_sel_hi:[0,1,0] neg_lo:[1,0,0] neg_hi:[1,0,0]
	v_cndmask_b32_e64 v73, 0, 1.0, s[12:13]
	v_cndmask_b32_e64 v72, 0, 1.0, s[16:17]
	v_pk_mul_f32 v[72:73], v[12:13], v[72:73] op_sel_hi:[0,1]
	v_cndmask_b32_e64 v75, v75, 1.0, s[0:1]
	v_cndmask_b32_e64 v74, v74, 1.0, vcc
	v_pk_fma_f32 v[86:87], v[74:75], v[72:73], v[6:7]
	scratch_load_dwordx2 v[6:7], off, off offset:3788 ; 8-byte Folded Reload
	scratch_load_dwordx2 v[72:73], off, off offset:3796 ; 8-byte Folded Reload
	v_sub_f32_e32 v3, v108, v5
	s_waitcnt vmcnt(1)
	v_pk_add_f32 v[6:7], v[6:7], v[10:11] neg_lo:[0,1] neg_hi:[0,1]
	s_nop 0
	v_pk_mul_f32 v[6:7], v[6:7], v[6:7]
	s_waitcnt vmcnt(0)
	v_pk_add_f32 v[72:73], v[72:73], v[10:11] neg_lo:[0,1] neg_hi:[0,1]
	v_fma_f32 v3, v3, v3, v6
	v_add_f32_e32 v3, v3, v7
	v_cmp_gt_f32_e32 vcc, s39, v3
	v_mul_f32_e32 v4, 0x4f800000, v3
	v_pk_mul_f32 v[72:73], v[72:73], v[72:73]
	v_cndmask_b32_e32 v3, v3, v4, vcc
	v_sqrt_f32_e32 v4, v3
	s_nop 0
	v_add_u32_e32 v6, -1, v4
	v_fma_f32 v7, -v6, v4, v3
	v_cmp_ge_f32_e64 s[0:1], 0, v7
	v_add_u32_e32 v7, 1, v4
	s_nop 0
	v_cndmask_b32_e64 v6, v4, v6, s[0:1]
	v_fma_f32 v4, -v7, v4, v3
	v_cmp_lt_f32_e64 s[0:1], 0, v4
	s_nop 1
	v_cndmask_b32_e64 v4, v6, v7, s[0:1]
	v_mul_f32_e32 v6, 0x37800000, v4
	v_cndmask_b32_e32 v4, v4, v6, vcc
	v_cmp_class_f32_e32 vcc, v3, v9
	s_nop 1
	v_cndmask_b32_e32 v6, v4, v3, vcc
	v_sub_f32_e32 v3, v109, v5
	v_fma_f32 v3, v3, v3, v72
	v_add_f32_e32 v3, v3, v73
	v_cmp_gt_f32_e32 vcc, s39, v3
	v_mul_f32_e32 v4, 0x4f800000, v3
	s_nop 0
	v_cndmask_b32_e32 v3, v3, v4, vcc
	v_sqrt_f32_e32 v4, v3
	s_nop 0
	v_add_u32_e32 v7, -1, v4
	v_fma_f32 v72, -v7, v4, v3
	v_cmp_ge_f32_e64 s[0:1], 0, v72
	v_add_u32_e32 v72, 1, v4
	s_nop 0
	v_cndmask_b32_e64 v7, v4, v7, s[0:1]
	v_fma_f32 v4, -v72, v4, v3
	v_cmp_lt_f32_e64 s[0:1], 0, v4
	s_nop 1
	v_cndmask_b32_e64 v4, v7, v72, s[0:1]
	v_mul_f32_e32 v7, 0x37800000, v4
	v_cndmask_b32_e32 v4, v4, v7, vcc
	v_cmp_class_f32_e32 vcc, v3, v9
	s_nop 1
	v_cndmask_b32_e32 v7, v4, v3, vcc
	v_pk_add_f32 v[72:73], v[6:7], v[8:9] op_sel_hi:[1,0] neg_lo:[0,1] neg_hi:[0,1]
	v_pk_fma_f32 v[6:7], v[62:63], v[6:7], 1.0 op_sel_hi:[0,1,0] neg_lo:[1,0,0] neg_hi:[1,0,0]
	v_cmp_gt_f32_e32 vcc, 0, v72
	v_cmp_gt_f32_e64 s[0:1], 0, v73
	v_cmp_lt_f32_e64 s[12:13], v72, v1
	v_cndmask_b32_e32 v74, 0, v61, vcc
	v_cndmask_b32_e64 v75, 0, v61, s[0:1]
	v_pk_fma_f32 v[6:7], v[6:7], v[74:75], v[80:81]
	v_pk_fma_f32 v[74:75], v[0:1], v[72:73], 1.0 op_sel_hi:[0,1,0] neg_lo:[1,0,0] neg_hi:[1,0,0]
	v_cmp_lt_f32_e64 s[16:17], v73, v1
	v_cndmask_b32_e64 v75, v75, 1.0, s[0:1]
	v_cndmask_b32_e64 v74, v74, 1.0, vcc
	v_cndmask_b32_e64 v81, 0, 1.0, s[16:17]
	v_cndmask_b32_e64 v80, 0, 1.0, s[12:13]
	v_pk_mul_f32 v[74:75], v[80:81], v[74:75]
	v_cmp_lt_f32_e64 s[12:13], v73, v70
	v_pk_mul_f32 v[74:75], v[60:61], v[74:75] op_sel_hi:[0,1]
	v_cmp_lt_f32_e64 s[16:17], v72, v70
	v_cndmask_b32_e64 v75, v75, -|v75|, s[34:35]
	v_cndmask_b32_e64 v74, v74, -|v74|, s[34:35]
	s_and_b64 s[16:17], s[10:11], s[16:17]
	s_and_b64 s[12:13], s[10:11], s[12:13]
	v_pk_fma_f32 v[6:7], v[74:75], s[28:29], v[6:7] op_sel_hi:[1,0,1]
	v_pk_fma_f32 v[74:75], v[2:3], v[72:73], 1.0 op_sel_hi:[0,1,0] neg_lo:[1,0,0] neg_hi:[1,0,0]
	v_cndmask_b32_e64 v73, 0, 1.0, s[12:13]
	v_cndmask_b32_e64 v72, 0, 1.0, s[16:17]
	v_pk_mul_f32 v[72:73], v[12:13], v[72:73] op_sel_hi:[0,1]
	v_cndmask_b32_e64 v75, v75, 1.0, s[0:1]
	v_cndmask_b32_e64 v74, v74, 1.0, vcc
	v_pk_fma_f32 v[80:81], v[74:75], v[72:73], v[6:7]
	scratch_load_dwordx2 v[6:7], off, off offset:3804 ; 8-byte Folded Reload
	scratch_load_dwordx2 v[72:73], off, off offset:3812 ; 8-byte Folded Reload
	v_sub_f32_e32 v3, v63, v5
	s_waitcnt vmcnt(1)
	v_pk_add_f32 v[6:7], v[6:7], v[10:11] neg_lo:[0,1] neg_hi:[0,1]
	s_nop 0
	v_pk_mul_f32 v[6:7], v[6:7], v[6:7]
	s_waitcnt vmcnt(0)
	v_pk_add_f32 v[72:73], v[72:73], v[10:11] neg_lo:[0,1] neg_hi:[0,1]
	v_fma_f32 v3, v3, v3, v6
	v_add_f32_e32 v3, v3, v7
	v_cmp_gt_f32_e32 vcc, s39, v3
	v_mul_f32_e32 v4, 0x4f800000, v3
	v_pk_mul_f32 v[72:73], v[72:73], v[72:73]
	v_cndmask_b32_e32 v3, v3, v4, vcc
	v_sqrt_f32_e32 v4, v3
	s_nop 0
	v_add_u32_e32 v6, -1, v4
	v_fma_f32 v7, -v6, v4, v3
	v_cmp_ge_f32_e64 s[0:1], 0, v7
	v_add_u32_e32 v7, 1, v4
	s_nop 0
	v_cndmask_b32_e64 v6, v4, v6, s[0:1]
	v_fma_f32 v4, -v7, v4, v3
	v_cmp_lt_f32_e64 s[0:1], 0, v4
	s_nop 1
	v_cndmask_b32_e64 v4, v6, v7, s[0:1]
	v_mul_f32_e32 v6, 0x37800000, v4
	v_cndmask_b32_e32 v4, v4, v6, vcc
	v_cmp_class_f32_e32 vcc, v3, v9
	s_nop 1
	v_cndmask_b32_e32 v6, v4, v3, vcc
	v_sub_f32_e32 v3, v100, v5
	v_fma_f32 v3, v3, v3, v72
	v_add_f32_e32 v3, v3, v73
	v_cmp_gt_f32_e32 vcc, s39, v3
	v_mul_f32_e32 v4, 0x4f800000, v3
	s_nop 0
	v_cndmask_b32_e32 v3, v3, v4, vcc
	v_sqrt_f32_e32 v4, v3
	s_nop 0
	v_add_u32_e32 v7, -1, v4
	v_fma_f32 v72, -v7, v4, v3
	v_cmp_ge_f32_e64 s[0:1], 0, v72
	v_add_u32_e32 v72, 1, v4
	s_nop 0
	v_cndmask_b32_e64 v7, v4, v7, s[0:1]
	v_fma_f32 v4, -v72, v4, v3
	v_cmp_lt_f32_e64 s[0:1], 0, v4
	s_nop 1
	v_cndmask_b32_e64 v4, v7, v72, s[0:1]
	v_mul_f32_e32 v7, 0x37800000, v4
	v_cndmask_b32_e32 v4, v4, v7, vcc
	v_cmp_class_f32_e32 vcc, v3, v9
	s_nop 1
	v_cndmask_b32_e32 v7, v4, v3, vcc
	v_pk_add_f32 v[72:73], v[6:7], v[8:9] op_sel_hi:[1,0] neg_lo:[0,1] neg_hi:[0,1]
	v_pk_fma_f32 v[6:7], v[62:63], v[6:7], 1.0 op_sel_hi:[0,1,0] neg_lo:[1,0,0] neg_hi:[1,0,0]
	v_cmp_gt_f32_e32 vcc, 0, v72
	v_cmp_gt_f32_e64 s[0:1], 0, v73
	v_cmp_lt_f32_e64 s[12:13], v72, v1
	v_cndmask_b32_e32 v74, 0, v61, vcc
	v_cndmask_b32_e64 v75, 0, v61, s[0:1]
	v_pk_fma_f32 v[6:7], v[6:7], v[74:75], v[82:83]
	v_pk_fma_f32 v[74:75], v[0:1], v[72:73], 1.0 op_sel_hi:[0,1,0] neg_lo:[1,0,0] neg_hi:[1,0,0]
	v_cmp_lt_f32_e64 s[16:17], v73, v1
	v_cndmask_b32_e64 v75, v75, 1.0, s[0:1]
	v_cndmask_b32_e64 v74, v74, 1.0, vcc
	v_cndmask_b32_e64 v83, 0, 1.0, s[16:17]
	v_cndmask_b32_e64 v82, 0, 1.0, s[12:13]
	v_pk_mul_f32 v[74:75], v[82:83], v[74:75]
	v_cmp_lt_f32_e64 s[12:13], v73, v70
	v_pk_mul_f32 v[74:75], v[60:61], v[74:75] op_sel_hi:[0,1]
	v_cmp_lt_f32_e64 s[16:17], v72, v70
	v_cndmask_b32_e64 v75, v75, -|v75|, s[34:35]
	v_cndmask_b32_e64 v74, v74, -|v74|, s[34:35]
	s_and_b64 s[16:17], s[10:11], s[16:17]
	s_and_b64 s[12:13], s[10:11], s[12:13]
	v_pk_fma_f32 v[6:7], v[74:75], s[28:29], v[6:7] op_sel_hi:[1,0,1]
	v_pk_fma_f32 v[74:75], v[2:3], v[72:73], 1.0 op_sel_hi:[0,1,0] neg_lo:[1,0,0] neg_hi:[1,0,0]
	v_cndmask_b32_e64 v73, 0, 1.0, s[12:13]
	v_cndmask_b32_e64 v72, 0, 1.0, s[16:17]
	v_pk_mul_f32 v[72:73], v[12:13], v[72:73] op_sel_hi:[0,1]
	v_cndmask_b32_e64 v75, v75, 1.0, s[0:1]
	v_cndmask_b32_e64 v74, v74, 1.0, vcc
	v_pk_fma_f32 v[82:83], v[74:75], v[72:73], v[6:7]
	scratch_load_dwordx2 v[6:7], off, off offset:3820 ; 8-byte Folded Reload
	scratch_load_dwordx2 v[72:73], off, off offset:3828 ; 8-byte Folded Reload
	v_sub_f32_e32 v3, v101, v5
	s_waitcnt vmcnt(1)
	v_pk_add_f32 v[6:7], v[6:7], v[10:11] neg_lo:[0,1] neg_hi:[0,1]
	s_nop 0
	v_pk_mul_f32 v[6:7], v[6:7], v[6:7]
	s_waitcnt vmcnt(0)
	v_pk_add_f32 v[72:73], v[72:73], v[10:11] neg_lo:[0,1] neg_hi:[0,1]
	v_fma_f32 v3, v3, v3, v6
	v_add_f32_e32 v3, v3, v7
	v_cmp_gt_f32_e32 vcc, s39, v3
	v_mul_f32_e32 v4, 0x4f800000, v3
	v_pk_mul_f32 v[72:73], v[72:73], v[72:73]
	v_cndmask_b32_e32 v3, v3, v4, vcc
	v_sqrt_f32_e32 v4, v3
	s_nop 0
	v_add_u32_e32 v6, -1, v4
	v_fma_f32 v7, -v6, v4, v3
	v_cmp_ge_f32_e64 s[0:1], 0, v7
	v_add_u32_e32 v7, 1, v4
	s_nop 0
	v_cndmask_b32_e64 v6, v4, v6, s[0:1]
	v_fma_f32 v4, -v7, v4, v3
	v_cmp_lt_f32_e64 s[0:1], 0, v4
	s_nop 1
	v_cndmask_b32_e64 v4, v6, v7, s[0:1]
	v_mul_f32_e32 v6, 0x37800000, v4
	v_cndmask_b32_e32 v4, v4, v6, vcc
	v_cmp_class_f32_e32 vcc, v3, v9
	s_nop 1
	v_cndmask_b32_e32 v6, v4, v3, vcc
	v_sub_f32_e32 v3, v102, v5
	v_fma_f32 v3, v3, v3, v72
	v_add_f32_e32 v3, v3, v73
	v_cmp_gt_f32_e32 vcc, s39, v3
	v_mul_f32_e32 v4, 0x4f800000, v3
	s_nop 0
	v_cndmask_b32_e32 v3, v3, v4, vcc
	v_sqrt_f32_e32 v4, v3
	s_nop 0
	v_add_u32_e32 v7, -1, v4
	v_fma_f32 v72, -v7, v4, v3
	v_cmp_ge_f32_e64 s[0:1], 0, v72
	v_add_u32_e32 v72, 1, v4
	s_nop 0
	v_cndmask_b32_e64 v7, v4, v7, s[0:1]
	v_fma_f32 v4, -v72, v4, v3
	v_cmp_lt_f32_e64 s[0:1], 0, v4
	s_nop 1
	v_cndmask_b32_e64 v4, v7, v72, s[0:1]
	v_mul_f32_e32 v7, 0x37800000, v4
	v_cndmask_b32_e32 v4, v4, v7, vcc
	v_cmp_class_f32_e32 vcc, v3, v9
	s_nop 1
	v_cndmask_b32_e32 v7, v4, v3, vcc
	v_pk_add_f32 v[72:73], v[6:7], v[8:9] op_sel_hi:[1,0] neg_lo:[0,1] neg_hi:[0,1]
	v_pk_fma_f32 v[6:7], v[62:63], v[6:7], 1.0 op_sel_hi:[0,1,0] neg_lo:[1,0,0] neg_hi:[1,0,0]
	v_cmp_gt_f32_e32 vcc, 0, v72
	v_cmp_gt_f32_e64 s[0:1], 0, v73
	v_cmp_lt_f32_e64 s[12:13], v72, v1
	v_cndmask_b32_e32 v74, 0, v61, vcc
	v_cndmask_b32_e64 v75, 0, v61, s[0:1]
	v_pk_fma_f32 v[6:7], v[6:7], v[74:75], v[38:39]
	v_pk_fma_f32 v[38:39], v[0:1], v[72:73], 1.0 op_sel_hi:[0,1,0] neg_lo:[1,0,0] neg_hi:[1,0,0]
	v_cmp_lt_f32_e64 s[16:17], v73, v1
	v_cndmask_b32_e64 v39, v39, 1.0, s[0:1]
	v_cndmask_b32_e64 v38, v38, 1.0, vcc
	v_cndmask_b32_e64 v75, 0, 1.0, s[16:17]
	v_cndmask_b32_e64 v74, 0, 1.0, s[12:13]
	v_pk_mul_f32 v[38:39], v[74:75], v[38:39]
	v_cmp_lt_f32_e64 s[12:13], v73, v70
	v_pk_mul_f32 v[38:39], v[60:61], v[38:39] op_sel_hi:[0,1]
	v_cmp_lt_f32_e64 s[16:17], v72, v70
	v_cndmask_b32_e64 v39, v39, -|v39|, s[34:35]
	v_cndmask_b32_e64 v38, v38, -|v38|, s[34:35]
	s_and_b64 s[16:17], s[10:11], s[16:17]
	s_and_b64 s[12:13], s[10:11], s[12:13]
	v_pk_fma_f32 v[6:7], v[38:39], s[28:29], v[6:7] op_sel_hi:[1,0,1]
	v_pk_fma_f32 v[38:39], v[2:3], v[72:73], 1.0 op_sel_hi:[0,1,0] neg_lo:[1,0,0] neg_hi:[1,0,0]
	v_cndmask_b32_e64 v73, 0, 1.0, s[12:13]
	v_cndmask_b32_e64 v72, 0, 1.0, s[16:17]
	v_pk_mul_f32 v[72:73], v[12:13], v[72:73] op_sel_hi:[0,1]
	v_cndmask_b32_e64 v39, v39, 1.0, s[0:1]
	v_cndmask_b32_e64 v38, v38, 1.0, vcc
	v_pk_fma_f32 v[38:39], v[38:39], v[72:73], v[6:7]
	scratch_load_dwordx2 v[6:7], off, off offset:3836 ; 8-byte Folded Reload
	scratch_load_dwordx2 v[72:73], off, off offset:3844 ; 8-byte Folded Reload
	v_sub_f32_e32 v3, v103, v5
	s_waitcnt vmcnt(1)
	v_pk_add_f32 v[6:7], v[6:7], v[10:11] neg_lo:[0,1] neg_hi:[0,1]
	s_nop 0
	v_pk_mul_f32 v[6:7], v[6:7], v[6:7]
	s_waitcnt vmcnt(0)
	v_pk_add_f32 v[72:73], v[72:73], v[10:11] neg_lo:[0,1] neg_hi:[0,1]
	v_fma_f32 v3, v3, v3, v6
	v_add_f32_e32 v3, v3, v7
	v_cmp_gt_f32_e32 vcc, s39, v3
	v_mul_f32_e32 v4, 0x4f800000, v3
	v_pk_mul_f32 v[72:73], v[72:73], v[72:73]
	v_cndmask_b32_e32 v3, v3, v4, vcc
	v_sqrt_f32_e32 v4, v3
	s_nop 0
	v_add_u32_e32 v6, -1, v4
	v_fma_f32 v7, -v6, v4, v3
	v_cmp_ge_f32_e64 s[0:1], 0, v7
	v_add_u32_e32 v7, 1, v4
	s_nop 0
	v_cndmask_b32_e64 v6, v4, v6, s[0:1]
	v_fma_f32 v4, -v7, v4, v3
	v_cmp_lt_f32_e64 s[0:1], 0, v4
	s_nop 1
	v_cndmask_b32_e64 v4, v6, v7, s[0:1]
	v_mul_f32_e32 v6, 0x37800000, v4
	v_cndmask_b32_e32 v4, v4, v6, vcc
	v_cmp_class_f32_e32 vcc, v3, v9
	s_nop 1
	v_cndmask_b32_e32 v6, v4, v3, vcc
	v_sub_f32_e32 v3, v124, v5
	v_fma_f32 v3, v3, v3, v72
	v_add_f32_e32 v3, v3, v73
	v_cmp_gt_f32_e32 vcc, s39, v3
	v_mul_f32_e32 v4, 0x4f800000, v3
	s_nop 0
	v_cndmask_b32_e32 v3, v3, v4, vcc
	v_sqrt_f32_e32 v4, v3
	s_nop 0
	v_add_u32_e32 v7, -1, v4
	v_fma_f32 v72, -v7, v4, v3
	v_cmp_ge_f32_e64 s[0:1], 0, v72
	v_add_u32_e32 v72, 1, v4
	s_nop 0
	v_cndmask_b32_e64 v7, v4, v7, s[0:1]
	v_fma_f32 v4, -v72, v4, v3
	v_cmp_lt_f32_e64 s[0:1], 0, v4
	s_nop 1
	v_cndmask_b32_e64 v4, v7, v72, s[0:1]
	v_mul_f32_e32 v7, 0x37800000, v4
	v_cndmask_b32_e32 v4, v4, v7, vcc
	v_cmp_class_f32_e32 vcc, v3, v9
	s_nop 1
	v_cndmask_b32_e32 v7, v4, v3, vcc
	v_pk_add_f32 v[72:73], v[6:7], v[8:9] op_sel_hi:[1,0] neg_lo:[0,1] neg_hi:[0,1]
	v_pk_fma_f32 v[6:7], v[62:63], v[6:7], 1.0 op_sel_hi:[0,1,0] neg_lo:[1,0,0] neg_hi:[1,0,0]
	v_cmp_gt_f32_e32 vcc, 0, v72
	v_cmp_gt_f32_e64 s[0:1], 0, v73
	v_cmp_lt_f32_e64 s[12:13], v72, v1
	v_cndmask_b32_e32 v74, 0, v61, vcc
	v_cndmask_b32_e64 v75, 0, v61, s[0:1]
	v_pk_fma_f32 v[6:7], v[6:7], v[74:75], v[40:41]
	v_pk_fma_f32 v[40:41], v[0:1], v[72:73], 1.0 op_sel_hi:[0,1,0] neg_lo:[1,0,0] neg_hi:[1,0,0]
	v_cmp_lt_f32_e64 s[16:17], v73, v1
	v_cndmask_b32_e64 v41, v41, 1.0, s[0:1]
	v_cndmask_b32_e64 v40, v40, 1.0, vcc
	v_cndmask_b32_e64 v75, 0, 1.0, s[16:17]
	v_cndmask_b32_e64 v74, 0, 1.0, s[12:13]
	v_pk_mul_f32 v[40:41], v[74:75], v[40:41]
	v_cmp_lt_f32_e64 s[12:13], v73, v70
	v_pk_mul_f32 v[40:41], v[60:61], v[40:41] op_sel_hi:[0,1]
	v_cmp_lt_f32_e64 s[16:17], v72, v70
	v_cndmask_b32_e64 v41, v41, -|v41|, s[34:35]
	v_cndmask_b32_e64 v40, v40, -|v40|, s[34:35]
	s_and_b64 s[16:17], s[10:11], s[16:17]
	s_and_b64 s[12:13], s[10:11], s[12:13]
	v_pk_fma_f32 v[6:7], v[40:41], s[28:29], v[6:7] op_sel_hi:[1,0,1]
	v_pk_fma_f32 v[40:41], v[2:3], v[72:73], 1.0 op_sel_hi:[0,1,0] neg_lo:[1,0,0] neg_hi:[1,0,0]
	v_cndmask_b32_e64 v73, 0, 1.0, s[12:13]
	v_cndmask_b32_e64 v72, 0, 1.0, s[16:17]
	v_pk_mul_f32 v[72:73], v[12:13], v[72:73] op_sel_hi:[0,1]
	v_cndmask_b32_e64 v41, v41, 1.0, s[0:1]
	v_cndmask_b32_e64 v40, v40, 1.0, vcc
	v_pk_fma_f32 v[40:41], v[40:41], v[72:73], v[6:7]
	scratch_load_dwordx2 v[6:7], off, off offset:3852 ; 8-byte Folded Reload
	scratch_load_dwordx2 v[72:73], off, off offset:3860 ; 8-byte Folded Reload
	v_sub_f32_e32 v3, v125, v5
	s_waitcnt vmcnt(1)
	v_pk_add_f32 v[6:7], v[6:7], v[10:11] neg_lo:[0,1] neg_hi:[0,1]
	s_nop 0
	v_pk_mul_f32 v[6:7], v[6:7], v[6:7]
	s_waitcnt vmcnt(0)
	v_pk_add_f32 v[72:73], v[72:73], v[10:11] neg_lo:[0,1] neg_hi:[0,1]
	v_fma_f32 v3, v3, v3, v6
	v_add_f32_e32 v3, v3, v7
	v_cmp_gt_f32_e32 vcc, s39, v3
	v_mul_f32_e32 v4, 0x4f800000, v3
	v_pk_mul_f32 v[72:73], v[72:73], v[72:73]
	v_cndmask_b32_e32 v3, v3, v4, vcc
	v_sqrt_f32_e32 v4, v3
	s_nop 0
	v_add_u32_e32 v6, -1, v4
	v_fma_f32 v7, -v6, v4, v3
	v_cmp_ge_f32_e64 s[0:1], 0, v7
	v_add_u32_e32 v7, 1, v4
	s_nop 0
	v_cndmask_b32_e64 v6, v4, v6, s[0:1]
	v_fma_f32 v4, -v7, v4, v3
	v_cmp_lt_f32_e64 s[0:1], 0, v4
	s_nop 1
	v_cndmask_b32_e64 v4, v6, v7, s[0:1]
	v_mul_f32_e32 v6, 0x37800000, v4
	v_cndmask_b32_e32 v4, v4, v6, vcc
	v_cmp_class_f32_e32 vcc, v3, v9
	s_nop 1
	v_cndmask_b32_e32 v6, v4, v3, vcc
	v_sub_f32_e32 v3, v126, v5
	v_fma_f32 v3, v3, v3, v72
	v_add_f32_e32 v3, v3, v73
	v_cmp_gt_f32_e32 vcc, s39, v3
	v_mul_f32_e32 v4, 0x4f800000, v3
	s_nop 0
	v_cndmask_b32_e32 v3, v3, v4, vcc
	v_sqrt_f32_e32 v4, v3
	s_nop 0
	v_add_u32_e32 v7, -1, v4
	v_fma_f32 v72, -v7, v4, v3
	v_cmp_ge_f32_e64 s[0:1], 0, v72
	v_add_u32_e32 v72, 1, v4
	s_nop 0
	v_cndmask_b32_e64 v7, v4, v7, s[0:1]
	v_fma_f32 v4, -v72, v4, v3
	v_cmp_lt_f32_e64 s[0:1], 0, v4
	s_nop 1
	v_cndmask_b32_e64 v4, v7, v72, s[0:1]
	v_mul_f32_e32 v7, 0x37800000, v4
	v_cndmask_b32_e32 v4, v4, v7, vcc
	v_cmp_class_f32_e32 vcc, v3, v9
	s_nop 1
	v_cndmask_b32_e32 v7, v4, v3, vcc
	v_pk_add_f32 v[72:73], v[6:7], v[8:9] op_sel_hi:[1,0] neg_lo:[0,1] neg_hi:[0,1]
	v_pk_fma_f32 v[6:7], v[62:63], v[6:7], 1.0 op_sel_hi:[0,1,0] neg_lo:[1,0,0] neg_hi:[1,0,0]
	v_cmp_gt_f32_e32 vcc, 0, v72
	v_cmp_gt_f32_e64 s[0:1], 0, v73
	v_cmp_lt_f32_e64 s[12:13], v72, v1
	v_cndmask_b32_e32 v74, 0, v61, vcc
	v_cndmask_b32_e64 v75, 0, v61, s[0:1]
	v_pk_fma_f32 v[6:7], v[6:7], v[74:75], v[118:119]
	v_pk_fma_f32 v[74:75], v[0:1], v[72:73], 1.0 op_sel_hi:[0,1,0] neg_lo:[1,0,0] neg_hi:[1,0,0]
	v_cmp_lt_f32_e64 s[16:17], v73, v1
	v_cndmask_b32_e64 v75, v75, 1.0, s[0:1]
	v_cndmask_b32_e64 v74, v74, 1.0, vcc
	v_cndmask_b32_e64 v119, 0, 1.0, s[16:17]
	v_cndmask_b32_e64 v118, 0, 1.0, s[12:13]
	v_pk_mul_f32 v[74:75], v[118:119], v[74:75]
	v_cmp_lt_f32_e64 s[12:13], v73, v70
	v_pk_mul_f32 v[74:75], v[60:61], v[74:75] op_sel_hi:[0,1]
	v_cmp_lt_f32_e64 s[16:17], v72, v70
	v_cndmask_b32_e64 v75, v75, -|v75|, s[34:35]
	v_cndmask_b32_e64 v74, v74, -|v74|, s[34:35]
	s_and_b64 s[16:17], s[10:11], s[16:17]
	s_and_b64 s[12:13], s[10:11], s[12:13]
	v_pk_fma_f32 v[6:7], v[74:75], s[28:29], v[6:7] op_sel_hi:[1,0,1]
	v_pk_fma_f32 v[74:75], v[2:3], v[72:73], 1.0 op_sel_hi:[0,1,0] neg_lo:[1,0,0] neg_hi:[1,0,0]
	v_cndmask_b32_e64 v73, 0, 1.0, s[12:13]
	v_cndmask_b32_e64 v72, 0, 1.0, s[16:17]
	v_pk_mul_f32 v[72:73], v[12:13], v[72:73] op_sel_hi:[0,1]
	v_cndmask_b32_e64 v75, v75, 1.0, s[0:1]
	v_cndmask_b32_e64 v74, v74, 1.0, vcc
	v_pk_fma_f32 v[118:119], v[74:75], v[72:73], v[6:7]
	scratch_load_dwordx2 v[6:7], off, off offset:3868 ; 8-byte Folded Reload
	scratch_load_dwordx2 v[72:73], off, off offset:3876 ; 8-byte Folded Reload
	v_sub_f32_e32 v3, v127, v5
	s_waitcnt vmcnt(1)
	v_pk_add_f32 v[6:7], v[6:7], v[10:11] neg_lo:[0,1] neg_hi:[0,1]
	s_nop 0
	v_pk_mul_f32 v[6:7], v[6:7], v[6:7]
	s_waitcnt vmcnt(0)
	v_pk_add_f32 v[72:73], v[72:73], v[10:11] neg_lo:[0,1] neg_hi:[0,1]
	v_fma_f32 v3, v3, v3, v6
	v_add_f32_e32 v3, v3, v7
	v_cmp_gt_f32_e32 vcc, s39, v3
	v_mul_f32_e32 v4, 0x4f800000, v3
	v_pk_mul_f32 v[72:73], v[72:73], v[72:73]
	v_cndmask_b32_e32 v3, v3, v4, vcc
	v_sqrt_f32_e32 v4, v3
	s_nop 0
	v_add_u32_e32 v6, -1, v4
	v_fma_f32 v7, -v6, v4, v3
	v_cmp_ge_f32_e64 s[0:1], 0, v7
	v_add_u32_e32 v7, 1, v4
	s_nop 0
	v_cndmask_b32_e64 v6, v4, v6, s[0:1]
	v_fma_f32 v4, -v7, v4, v3
	v_cmp_lt_f32_e64 s[0:1], 0, v4
	s_nop 1
	v_cndmask_b32_e64 v4, v6, v7, s[0:1]
	v_mul_f32_e32 v6, 0x37800000, v4
	v_cndmask_b32_e32 v4, v4, v6, vcc
	v_cmp_class_f32_e32 vcc, v3, v9
	s_nop 1
	v_cndmask_b32_e32 v6, v4, v3, vcc
	v_sub_f32_e32 v3, v42, v5
	v_fma_f32 v3, v3, v3, v72
	v_add_f32_e32 v3, v3, v73
	v_cmp_gt_f32_e32 vcc, s39, v3
	v_mul_f32_e32 v4, 0x4f800000, v3
	s_nop 0
	v_cndmask_b32_e32 v3, v3, v4, vcc
	v_sqrt_f32_e32 v4, v3
	s_nop 0
	v_add_u32_e32 v7, -1, v4
	v_fma_f32 v72, -v7, v4, v3
	v_cmp_ge_f32_e64 s[0:1], 0, v72
	v_add_u32_e32 v72, 1, v4
	s_nop 0
	v_cndmask_b32_e64 v7, v4, v7, s[0:1]
	v_fma_f32 v4, -v72, v4, v3
	v_cmp_lt_f32_e64 s[0:1], 0, v4
	s_nop 1
	v_cndmask_b32_e64 v4, v7, v72, s[0:1]
	v_mul_f32_e32 v7, 0x37800000, v4
	v_cndmask_b32_e32 v4, v4, v7, vcc
	v_cmp_class_f32_e32 vcc, v3, v9
	s_nop 1
	v_cndmask_b32_e32 v7, v4, v3, vcc
	v_pk_add_f32 v[72:73], v[6:7], v[8:9] op_sel_hi:[1,0] neg_lo:[0,1] neg_hi:[0,1]
	v_pk_fma_f32 v[6:7], v[62:63], v[6:7], 1.0 op_sel_hi:[0,1,0] neg_lo:[1,0,0] neg_hi:[1,0,0]
	v_cmp_gt_f32_e32 vcc, 0, v72
	v_cmp_gt_f32_e64 s[0:1], 0, v73
	v_cmp_lt_f32_e64 s[12:13], v72, v1
	v_cndmask_b32_e32 v74, 0, v61, vcc
	v_cndmask_b32_e64 v75, 0, v61, s[0:1]
	v_pk_fma_f32 v[6:7], v[6:7], v[74:75], v[120:121]
	v_pk_fma_f32 v[74:75], v[0:1], v[72:73], 1.0 op_sel_hi:[0,1,0] neg_lo:[1,0,0] neg_hi:[1,0,0]
	v_cmp_lt_f32_e64 s[16:17], v73, v1
	v_cndmask_b32_e64 v75, v75, 1.0, s[0:1]
	v_cndmask_b32_e64 v74, v74, 1.0, vcc
	v_cndmask_b32_e64 v121, 0, 1.0, s[16:17]
	v_cndmask_b32_e64 v120, 0, 1.0, s[12:13]
	v_pk_mul_f32 v[74:75], v[120:121], v[74:75]
	v_cmp_lt_f32_e64 s[12:13], v73, v70
	v_pk_mul_f32 v[74:75], v[60:61], v[74:75] op_sel_hi:[0,1]
	v_cmp_lt_f32_e64 s[16:17], v72, v70
	v_cndmask_b32_e64 v75, v75, -|v75|, s[34:35]
	v_cndmask_b32_e64 v74, v74, -|v74|, s[34:35]
	s_and_b64 s[16:17], s[10:11], s[16:17]
	s_and_b64 s[12:13], s[10:11], s[12:13]
	v_pk_fma_f32 v[6:7], v[74:75], s[28:29], v[6:7] op_sel_hi:[1,0,1]
	v_pk_fma_f32 v[74:75], v[2:3], v[72:73], 1.0 op_sel_hi:[0,1,0] neg_lo:[1,0,0] neg_hi:[1,0,0]
	v_cndmask_b32_e64 v73, 0, 1.0, s[12:13]
	v_cndmask_b32_e64 v72, 0, 1.0, s[16:17]
	v_pk_mul_f32 v[72:73], v[12:13], v[72:73] op_sel_hi:[0,1]
	v_cndmask_b32_e64 v75, v75, 1.0, s[0:1]
	v_cndmask_b32_e64 v74, v74, 1.0, vcc
	v_pk_fma_f32 v[120:121], v[74:75], v[72:73], v[6:7]
	scratch_load_dwordx2 v[6:7], off, off offset:3884 ; 8-byte Folded Reload
	scratch_load_dwordx2 v[72:73], off, off offset:3892 ; 8-byte Folded Reload
	v_sub_f32_e32 v3, v43, v5
	s_waitcnt vmcnt(1)
	v_pk_add_f32 v[6:7], v[6:7], v[10:11] neg_lo:[0,1] neg_hi:[0,1]
	s_nop 0
	v_pk_mul_f32 v[6:7], v[6:7], v[6:7]
	s_waitcnt vmcnt(0)
	v_pk_add_f32 v[72:73], v[72:73], v[10:11] neg_lo:[0,1] neg_hi:[0,1]
	v_fma_f32 v3, v3, v3, v6
	v_add_f32_e32 v3, v3, v7
	v_cmp_gt_f32_e32 vcc, s39, v3
	v_mul_f32_e32 v4, 0x4f800000, v3
	v_pk_mul_f32 v[72:73], v[72:73], v[72:73]
	v_cndmask_b32_e32 v3, v3, v4, vcc
	v_sqrt_f32_e32 v4, v3
	s_nop 0
	v_add_u32_e32 v6, -1, v4
	v_fma_f32 v7, -v6, v4, v3
	v_cmp_ge_f32_e64 s[0:1], 0, v7
	v_add_u32_e32 v7, 1, v4
	s_nop 0
	v_cndmask_b32_e64 v6, v4, v6, s[0:1]
	v_fma_f32 v4, -v7, v4, v3
	v_cmp_lt_f32_e64 s[0:1], 0, v4
	s_nop 1
	v_cndmask_b32_e64 v4, v6, v7, s[0:1]
	v_mul_f32_e32 v6, 0x37800000, v4
	v_cndmask_b32_e32 v4, v4, v6, vcc
	v_cmp_class_f32_e32 vcc, v3, v9
	s_nop 1
	v_cndmask_b32_e32 v6, v4, v3, vcc
	v_sub_f32_e32 v3, v44, v5
	v_fma_f32 v3, v3, v3, v72
	v_add_f32_e32 v3, v3, v73
	v_cmp_gt_f32_e32 vcc, s39, v3
	v_mul_f32_e32 v4, 0x4f800000, v3
	s_nop 0
	v_cndmask_b32_e32 v3, v3, v4, vcc
	v_sqrt_f32_e32 v4, v3
	s_nop 0
	v_add_u32_e32 v7, -1, v4
	v_fma_f32 v72, -v7, v4, v3
	v_cmp_ge_f32_e64 s[0:1], 0, v72
	v_add_u32_e32 v72, 1, v4
	s_nop 0
	v_cndmask_b32_e64 v7, v4, v7, s[0:1]
	v_fma_f32 v4, -v72, v4, v3
	v_cmp_lt_f32_e64 s[0:1], 0, v4
	s_nop 1
	v_cndmask_b32_e64 v4, v7, v72, s[0:1]
	v_mul_f32_e32 v7, 0x37800000, v4
	v_cndmask_b32_e32 v4, v4, v7, vcc
	v_cmp_class_f32_e32 vcc, v3, v9
	s_nop 1
	v_cndmask_b32_e32 v7, v4, v3, vcc
	v_pk_add_f32 v[72:73], v[6:7], v[8:9] op_sel_hi:[1,0] neg_lo:[0,1] neg_hi:[0,1]
	v_pk_fma_f32 v[6:7], v[62:63], v[6:7], 1.0 op_sel_hi:[0,1,0] neg_lo:[1,0,0] neg_hi:[1,0,0]
	v_cmp_gt_f32_e32 vcc, 0, v72
	v_cmp_gt_f32_e64 s[0:1], 0, v73
	v_cmp_lt_f32_e64 s[12:13], v72, v1
	v_cndmask_b32_e32 v74, 0, v61, vcc
	v_cndmask_b32_e64 v75, 0, v61, s[0:1]
	v_pk_fma_f32 v[6:7], v[6:7], v[74:75], v[20:21]
	v_pk_fma_f32 v[20:21], v[0:1], v[72:73], 1.0 op_sel_hi:[0,1,0] neg_lo:[1,0,0] neg_hi:[1,0,0]
	v_cmp_lt_f32_e64 s[16:17], v73, v1
	v_cndmask_b32_e64 v21, v21, 1.0, s[0:1]
	v_cndmask_b32_e64 v20, v20, 1.0, vcc
	v_cndmask_b32_e64 v75, 0, 1.0, s[16:17]
	v_cndmask_b32_e64 v74, 0, 1.0, s[12:13]
	v_pk_mul_f32 v[20:21], v[74:75], v[20:21]
	v_cmp_lt_f32_e64 s[12:13], v73, v70
	v_pk_mul_f32 v[20:21], v[60:61], v[20:21] op_sel_hi:[0,1]
	v_cmp_lt_f32_e64 s[16:17], v72, v70
	v_cndmask_b32_e64 v21, v21, -|v21|, s[34:35]
	v_cndmask_b32_e64 v20, v20, -|v20|, s[34:35]
	s_and_b64 s[16:17], s[10:11], s[16:17]
	s_and_b64 s[12:13], s[10:11], s[12:13]
	v_pk_fma_f32 v[6:7], v[20:21], s[28:29], v[6:7] op_sel_hi:[1,0,1]
	v_pk_fma_f32 v[20:21], v[2:3], v[72:73], 1.0 op_sel_hi:[0,1,0] neg_lo:[1,0,0] neg_hi:[1,0,0]
	v_cndmask_b32_e64 v73, 0, 1.0, s[12:13]
	v_cndmask_b32_e64 v72, 0, 1.0, s[16:17]
	v_pk_mul_f32 v[72:73], v[12:13], v[72:73] op_sel_hi:[0,1]
	v_cndmask_b32_e64 v21, v21, 1.0, s[0:1]
	v_cndmask_b32_e64 v20, v20, 1.0, vcc
	v_pk_fma_f32 v[20:21], v[20:21], v[72:73], v[6:7]
	scratch_load_dwordx2 v[6:7], off, off offset:3900 ; 8-byte Folded Reload
	scratch_load_dwordx2 v[72:73], off, off offset:3908 ; 8-byte Folded Reload
	v_sub_f32_e32 v3, v45, v5
	s_waitcnt vmcnt(1)
	v_pk_add_f32 v[6:7], v[6:7], v[10:11] neg_lo:[0,1] neg_hi:[0,1]
	s_nop 0
	v_pk_mul_f32 v[6:7], v[6:7], v[6:7]
	s_waitcnt vmcnt(0)
	v_pk_add_f32 v[72:73], v[72:73], v[10:11] neg_lo:[0,1] neg_hi:[0,1]
	v_fma_f32 v3, v3, v3, v6
	v_add_f32_e32 v3, v3, v7
	v_cmp_gt_f32_e32 vcc, s39, v3
	v_mul_f32_e32 v4, 0x4f800000, v3
	v_pk_mul_f32 v[72:73], v[72:73], v[72:73]
	v_cndmask_b32_e32 v3, v3, v4, vcc
	v_sqrt_f32_e32 v4, v3
	s_nop 0
	v_add_u32_e32 v6, -1, v4
	v_fma_f32 v7, -v6, v4, v3
	v_cmp_ge_f32_e64 s[0:1], 0, v7
	v_add_u32_e32 v7, 1, v4
	s_nop 0
	v_cndmask_b32_e64 v6, v4, v6, s[0:1]
	v_fma_f32 v4, -v7, v4, v3
	v_cmp_lt_f32_e64 s[0:1], 0, v4
	s_nop 1
	v_cndmask_b32_e64 v4, v6, v7, s[0:1]
	v_mul_f32_e32 v6, 0x37800000, v4
	v_cndmask_b32_e32 v4, v4, v6, vcc
	v_cmp_class_f32_e32 vcc, v3, v9
	s_nop 1
	v_cndmask_b32_e32 v6, v4, v3, vcc
	v_sub_f32_e32 v3, v64, v5
	v_fma_f32 v3, v3, v3, v72
	v_add_f32_e32 v3, v3, v73
	v_cmp_gt_f32_e32 vcc, s39, v3
	v_mul_f32_e32 v4, 0x4f800000, v3
	s_nop 0
	v_cndmask_b32_e32 v3, v3, v4, vcc
	v_sqrt_f32_e32 v4, v3
	s_nop 0
	v_add_u32_e32 v7, -1, v4
	v_fma_f32 v72, -v7, v4, v3
	v_cmp_ge_f32_e64 s[0:1], 0, v72
	v_add_u32_e32 v72, 1, v4
	s_nop 0
	v_cndmask_b32_e64 v7, v4, v7, s[0:1]
	v_fma_f32 v4, -v72, v4, v3
	v_cmp_lt_f32_e64 s[0:1], 0, v4
	s_nop 1
	v_cndmask_b32_e64 v4, v7, v72, s[0:1]
	v_mul_f32_e32 v7, 0x37800000, v4
	v_cndmask_b32_e32 v4, v4, v7, vcc
	v_cmp_class_f32_e32 vcc, v3, v9
	s_nop 1
	v_cndmask_b32_e32 v7, v4, v3, vcc
	v_pk_add_f32 v[72:73], v[6:7], v[8:9] op_sel_hi:[1,0] neg_lo:[0,1] neg_hi:[0,1]
	v_pk_fma_f32 v[6:7], v[62:63], v[6:7], 1.0 op_sel_hi:[0,1,0] neg_lo:[1,0,0] neg_hi:[1,0,0]
	v_cmp_gt_f32_e32 vcc, 0, v72
	v_cmp_gt_f32_e64 s[0:1], 0, v73
	v_cmp_lt_f32_e64 s[12:13], v72, v1
	v_cndmask_b32_e32 v74, 0, v61, vcc
	v_cndmask_b32_e64 v75, 0, v61, s[0:1]
	v_pk_fma_f32 v[6:7], v[6:7], v[74:75], v[22:23]
	v_pk_fma_f32 v[22:23], v[0:1], v[72:73], 1.0 op_sel_hi:[0,1,0] neg_lo:[1,0,0] neg_hi:[1,0,0]
	v_cmp_lt_f32_e64 s[16:17], v73, v1
	v_cndmask_b32_e64 v23, v23, 1.0, s[0:1]
	v_cndmask_b32_e64 v22, v22, 1.0, vcc
	v_cndmask_b32_e64 v75, 0, 1.0, s[16:17]
	v_cndmask_b32_e64 v74, 0, 1.0, s[12:13]
	v_pk_mul_f32 v[22:23], v[74:75], v[22:23]
	v_cmp_lt_f32_e64 s[12:13], v73, v70
	v_pk_mul_f32 v[22:23], v[60:61], v[22:23] op_sel_hi:[0,1]
	v_cmp_lt_f32_e64 s[16:17], v72, v70
	v_cndmask_b32_e64 v23, v23, -|v23|, s[34:35]
	v_cndmask_b32_e64 v22, v22, -|v22|, s[34:35]
	s_and_b64 s[16:17], s[10:11], s[16:17]
	s_and_b64 s[12:13], s[10:11], s[12:13]
	v_pk_fma_f32 v[6:7], v[22:23], s[28:29], v[6:7] op_sel_hi:[1,0,1]
	v_pk_fma_f32 v[22:23], v[2:3], v[72:73], 1.0 op_sel_hi:[0,1,0] neg_lo:[1,0,0] neg_hi:[1,0,0]
	v_cndmask_b32_e64 v73, 0, 1.0, s[12:13]
	v_cndmask_b32_e64 v72, 0, 1.0, s[16:17]
	v_pk_mul_f32 v[72:73], v[12:13], v[72:73] op_sel_hi:[0,1]
	v_cndmask_b32_e64 v23, v23, 1.0, s[0:1]
	v_cndmask_b32_e64 v22, v22, 1.0, vcc
	v_pk_fma_f32 v[22:23], v[22:23], v[72:73], v[6:7]
	scratch_load_dwordx2 v[6:7], off, off offset:3916 ; 8-byte Folded Reload
	scratch_load_dwordx2 v[72:73], off, off offset:3924 ; 8-byte Folded Reload
	v_sub_f32_e32 v3, v65, v5
	s_waitcnt vmcnt(1)
	v_pk_add_f32 v[6:7], v[6:7], v[10:11] neg_lo:[0,1] neg_hi:[0,1]
	s_nop 0
	v_pk_mul_f32 v[6:7], v[6:7], v[6:7]
	s_waitcnt vmcnt(0)
	v_pk_add_f32 v[72:73], v[72:73], v[10:11] neg_lo:[0,1] neg_hi:[0,1]
	v_fma_f32 v3, v3, v3, v6
	v_add_f32_e32 v3, v3, v7
	v_cmp_gt_f32_e32 vcc, s39, v3
	v_mul_f32_e32 v4, 0x4f800000, v3
	v_pk_mul_f32 v[72:73], v[72:73], v[72:73]
	v_cndmask_b32_e32 v3, v3, v4, vcc
	v_sqrt_f32_e32 v4, v3
	s_nop 0
	v_add_u32_e32 v6, -1, v4
	v_fma_f32 v7, -v6, v4, v3
	v_cmp_ge_f32_e64 s[0:1], 0, v7
	v_add_u32_e32 v7, 1, v4
	s_nop 0
	v_cndmask_b32_e64 v6, v4, v6, s[0:1]
	v_fma_f32 v4, -v7, v4, v3
	v_cmp_lt_f32_e64 s[0:1], 0, v4
	s_nop 1
	v_cndmask_b32_e64 v4, v6, v7, s[0:1]
	v_mul_f32_e32 v6, 0x37800000, v4
	v_cndmask_b32_e32 v4, v4, v6, vcc
	v_cmp_class_f32_e32 vcc, v3, v9
	s_nop 1
	v_cndmask_b32_e32 v6, v4, v3, vcc
	v_sub_f32_e32 v3, v66, v5
	v_fma_f32 v3, v3, v3, v72
	v_add_f32_e32 v3, v3, v73
	v_cmp_gt_f32_e32 vcc, s39, v3
	v_mul_f32_e32 v4, 0x4f800000, v3
	s_nop 0
	v_cndmask_b32_e32 v3, v3, v4, vcc
	v_sqrt_f32_e32 v4, v3
	s_nop 0
	v_add_u32_e32 v7, -1, v4
	v_fma_f32 v72, -v7, v4, v3
	v_cmp_ge_f32_e64 s[0:1], 0, v72
	v_add_u32_e32 v72, 1, v4
	s_nop 0
	v_cndmask_b32_e64 v7, v4, v7, s[0:1]
	v_fma_f32 v4, -v72, v4, v3
	v_cmp_lt_f32_e64 s[0:1], 0, v4
	s_nop 1
	v_cndmask_b32_e64 v4, v7, v72, s[0:1]
	v_mul_f32_e32 v7, 0x37800000, v4
	v_cndmask_b32_e32 v4, v4, v7, vcc
	v_cmp_class_f32_e32 vcc, v3, v9
	s_nop 1
	v_cndmask_b32_e32 v7, v4, v3, vcc
	v_pk_add_f32 v[72:73], v[6:7], v[8:9] op_sel_hi:[1,0] neg_lo:[0,1] neg_hi:[0,1]
	v_pk_fma_f32 v[6:7], v[62:63], v[6:7], 1.0 op_sel_hi:[0,1,0] neg_lo:[1,0,0] neg_hi:[1,0,0]
	v_cmp_gt_f32_e32 vcc, 0, v72
	v_cmp_gt_f32_e64 s[0:1], 0, v73
	v_cmp_lt_f32_e64 s[12:13], v72, v1
	v_cndmask_b32_e32 v74, 0, v61, vcc
	v_cndmask_b32_e64 v75, 0, v61, s[0:1]
	v_pk_fma_f32 v[6:7], v[6:7], v[74:75], v[34:35]
	v_pk_fma_f32 v[34:35], v[0:1], v[72:73], 1.0 op_sel_hi:[0,1,0] neg_lo:[1,0,0] neg_hi:[1,0,0]
	v_cmp_lt_f32_e64 s[16:17], v73, v1
	v_cndmask_b32_e64 v35, v35, 1.0, s[0:1]
	v_cndmask_b32_e64 v34, v34, 1.0, vcc
	v_cndmask_b32_e64 v75, 0, 1.0, s[16:17]
	v_cndmask_b32_e64 v74, 0, 1.0, s[12:13]
	v_pk_mul_f32 v[34:35], v[74:75], v[34:35]
	v_cmp_lt_f32_e64 s[12:13], v73, v70
	v_pk_mul_f32 v[34:35], v[60:61], v[34:35] op_sel_hi:[0,1]
	v_cmp_lt_f32_e64 s[16:17], v72, v70
	v_cndmask_b32_e64 v35, v35, -|v35|, s[34:35]
	v_cndmask_b32_e64 v34, v34, -|v34|, s[34:35]
	s_and_b64 s[16:17], s[10:11], s[16:17]
	s_and_b64 s[12:13], s[10:11], s[12:13]
	v_pk_fma_f32 v[6:7], v[34:35], s[28:29], v[6:7] op_sel_hi:[1,0,1]
	v_pk_fma_f32 v[34:35], v[2:3], v[72:73], 1.0 op_sel_hi:[0,1,0] neg_lo:[1,0,0] neg_hi:[1,0,0]
	v_cndmask_b32_e64 v73, 0, 1.0, s[12:13]
	v_cndmask_b32_e64 v72, 0, 1.0, s[16:17]
	v_pk_mul_f32 v[72:73], v[12:13], v[72:73] op_sel_hi:[0,1]
	v_cndmask_b32_e64 v35, v35, 1.0, s[0:1]
	v_cndmask_b32_e64 v34, v34, 1.0, vcc
	v_pk_fma_f32 v[34:35], v[34:35], v[72:73], v[6:7]
	scratch_load_dwordx2 v[6:7], off, off offset:3932 ; 8-byte Folded Reload
	scratch_load_dwordx2 v[72:73], off, off offset:3940 ; 8-byte Folded Reload
	v_sub_f32_e32 v3, v67, v5
	s_waitcnt vmcnt(1)
	v_pk_add_f32 v[6:7], v[6:7], v[10:11] neg_lo:[0,1] neg_hi:[0,1]
	s_nop 0
	v_pk_mul_f32 v[6:7], v[6:7], v[6:7]
	s_waitcnt vmcnt(0)
	v_pk_add_f32 v[72:73], v[72:73], v[10:11] neg_lo:[0,1] neg_hi:[0,1]
	v_fma_f32 v3, v3, v3, v6
	v_add_f32_e32 v3, v3, v7
	v_cmp_gt_f32_e32 vcc, s39, v3
	v_mul_f32_e32 v4, 0x4f800000, v3
	v_pk_mul_f32 v[72:73], v[72:73], v[72:73]
	v_cndmask_b32_e32 v3, v3, v4, vcc
	v_sqrt_f32_e32 v4, v3
	s_nop 0
	v_add_u32_e32 v6, -1, v4
	v_fma_f32 v7, -v6, v4, v3
	v_cmp_ge_f32_e64 s[0:1], 0, v7
	v_add_u32_e32 v7, 1, v4
	s_nop 0
	v_cndmask_b32_e64 v6, v4, v6, s[0:1]
	v_fma_f32 v4, -v7, v4, v3
	v_cmp_lt_f32_e64 s[0:1], 0, v4
	s_nop 1
	v_cndmask_b32_e64 v4, v6, v7, s[0:1]
	v_mul_f32_e32 v6, 0x37800000, v4
	v_cndmask_b32_e32 v4, v4, v6, vcc
	v_cmp_class_f32_e32 vcc, v3, v9
	s_nop 1
	v_cndmask_b32_e32 v6, v4, v3, vcc
	v_sub_f32_e32 v3, v68, v5
	v_fma_f32 v3, v3, v3, v72
	v_add_f32_e32 v3, v3, v73
	v_cmp_gt_f32_e32 vcc, s39, v3
	v_mul_f32_e32 v4, 0x4f800000, v3
	s_nop 0
	v_cndmask_b32_e32 v3, v3, v4, vcc
	v_sqrt_f32_e32 v4, v3
	s_nop 0
	v_add_u32_e32 v7, -1, v4
	v_fma_f32 v72, -v7, v4, v3
	v_cmp_ge_f32_e64 s[0:1], 0, v72
	v_add_u32_e32 v72, 1, v4
	s_nop 0
	v_cndmask_b32_e64 v7, v4, v7, s[0:1]
	v_fma_f32 v4, -v72, v4, v3
	v_cmp_lt_f32_e64 s[0:1], 0, v4
	s_nop 1
	v_cndmask_b32_e64 v4, v7, v72, s[0:1]
	v_mul_f32_e32 v7, 0x37800000, v4
	v_cndmask_b32_e32 v4, v4, v7, vcc
	v_cmp_class_f32_e32 vcc, v3, v9
	s_nop 1
	v_cndmask_b32_e32 v7, v4, v3, vcc
	v_pk_add_f32 v[72:73], v[6:7], v[8:9] op_sel_hi:[1,0] neg_lo:[0,1] neg_hi:[0,1]
	v_pk_fma_f32 v[6:7], v[62:63], v[6:7], 1.0 op_sel_hi:[0,1,0] neg_lo:[1,0,0] neg_hi:[1,0,0]
	v_cmp_gt_f32_e32 vcc, 0, v72
	v_cmp_gt_f32_e64 s[0:1], 0, v73
	v_cmp_lt_f32_e64 s[12:13], v72, v1
	v_cndmask_b32_e32 v74, 0, v61, vcc
	v_cndmask_b32_e64 v75, 0, v61, s[0:1]
	v_pk_fma_f32 v[6:7], v[6:7], v[74:75], v[36:37]
	v_pk_fma_f32 v[36:37], v[0:1], v[72:73], 1.0 op_sel_hi:[0,1,0] neg_lo:[1,0,0] neg_hi:[1,0,0]
	v_cmp_lt_f32_e64 s[16:17], v73, v1
	v_cndmask_b32_e64 v37, v37, 1.0, s[0:1]
	v_cndmask_b32_e64 v36, v36, 1.0, vcc
	v_cndmask_b32_e64 v75, 0, 1.0, s[16:17]
	v_cndmask_b32_e64 v74, 0, 1.0, s[12:13]
	v_pk_mul_f32 v[36:37], v[74:75], v[36:37]
	v_cmp_lt_f32_e64 s[12:13], v73, v70
	v_pk_mul_f32 v[36:37], v[60:61], v[36:37] op_sel_hi:[0,1]
	v_cmp_lt_f32_e64 s[16:17], v72, v70
	v_cndmask_b32_e64 v37, v37, -|v37|, s[34:35]
	v_cndmask_b32_e64 v36, v36, -|v36|, s[34:35]
	s_and_b64 s[16:17], s[10:11], s[16:17]
	s_and_b64 s[12:13], s[10:11], s[12:13]
	v_pk_fma_f32 v[6:7], v[36:37], s[28:29], v[6:7] op_sel_hi:[1,0,1]
	v_pk_fma_f32 v[36:37], v[2:3], v[72:73], 1.0 op_sel_hi:[0,1,0] neg_lo:[1,0,0] neg_hi:[1,0,0]
	v_cndmask_b32_e64 v73, 0, 1.0, s[12:13]
	v_cndmask_b32_e64 v72, 0, 1.0, s[16:17]
	v_pk_mul_f32 v[72:73], v[12:13], v[72:73] op_sel_hi:[0,1]
	v_cndmask_b32_e64 v37, v37, 1.0, s[0:1]
	v_cndmask_b32_e64 v36, v36, 1.0, vcc
	v_pk_fma_f32 v[36:37], v[36:37], v[72:73], v[6:7]
	scratch_load_dwordx2 v[6:7], off, off offset:3948 ; 8-byte Folded Reload
	scratch_load_dwordx2 v[72:73], off, off offset:3344 ; 8-byte Folded Reload
	v_sub_f32_e32 v3, v69, v5
	s_waitcnt vmcnt(1)
	v_pk_add_f32 v[6:7], v[6:7], v[10:11] neg_lo:[0,1] neg_hi:[0,1]
	s_nop 0
	v_pk_mul_f32 v[6:7], v[6:7], v[6:7]
	s_waitcnt vmcnt(0)
	v_pk_add_f32 v[72:73], v[72:73], v[10:11] neg_lo:[0,1] neg_hi:[0,1]
	v_fma_f32 v3, v3, v3, v6
	v_add_f32_e32 v3, v3, v7
	v_cmp_gt_f32_e32 vcc, s39, v3
	v_mul_f32_e32 v4, 0x4f800000, v3
	v_pk_mul_f32 v[72:73], v[72:73], v[72:73]
	v_cndmask_b32_e32 v3, v3, v4, vcc
	v_sqrt_f32_e32 v4, v3
	s_nop 0
	v_add_u32_e32 v6, -1, v4
	v_fma_f32 v7, -v6, v4, v3
	v_cmp_ge_f32_e64 s[0:1], 0, v7
	v_add_u32_e32 v7, 1, v4
	s_nop 0
	v_cndmask_b32_e64 v6, v4, v6, s[0:1]
	v_fma_f32 v4, -v7, v4, v3
	v_cmp_lt_f32_e64 s[0:1], 0, v4
	s_nop 1
	v_cndmask_b32_e64 v4, v6, v7, s[0:1]
	v_mul_f32_e32 v6, 0x37800000, v4
	v_cndmask_b32_e32 v4, v4, v6, vcc
	v_cmp_class_f32_e32 vcc, v3, v9
	s_nop 1
	v_cndmask_b32_e32 v6, v4, v3, vcc
	v_sub_f32_e32 v3, v105, v5
	v_fma_f32 v3, v3, v3, v72
	v_add_f32_e32 v3, v3, v73
	v_cmp_gt_f32_e32 vcc, s39, v3
	v_mul_f32_e32 v4, 0x4f800000, v3
	s_nop 0
	v_cndmask_b32_e32 v3, v3, v4, vcc
	v_sqrt_f32_e32 v4, v3
	s_nop 0
	v_add_u32_e32 v7, -1, v4
	v_fma_f32 v72, -v7, v4, v3
	v_cmp_ge_f32_e64 s[0:1], 0, v72
	v_add_u32_e32 v72, 1, v4
	s_nop 0
	v_cndmask_b32_e64 v7, v4, v7, s[0:1]
	v_fma_f32 v4, -v72, v4, v3
	v_cmp_lt_f32_e64 s[0:1], 0, v4
	s_nop 1
	v_cndmask_b32_e64 v4, v7, v72, s[0:1]
	v_mul_f32_e32 v7, 0x37800000, v4
	v_cndmask_b32_e32 v4, v4, v7, vcc
	v_cmp_class_f32_e32 vcc, v3, v9
	s_nop 1
	v_cndmask_b32_e32 v7, v4, v3, vcc
	v_pk_add_f32 v[72:73], v[6:7], v[8:9] op_sel_hi:[1,0] neg_lo:[0,1] neg_hi:[0,1]
	v_pk_fma_f32 v[6:7], v[62:63], v[6:7], 1.0 op_sel_hi:[0,1,0] neg_lo:[1,0,0] neg_hi:[1,0,0]
	v_cmp_gt_f32_e32 vcc, 0, v72
	v_cmp_gt_f32_e64 s[0:1], 0, v73
	v_cmp_lt_f32_e64 s[12:13], v72, v1
	v_cndmask_b32_e32 v74, 0, v61, vcc
	v_cndmask_b32_e64 v75, 0, v61, s[0:1]
	v_pk_fma_f32 v[6:7], v[6:7], v[74:75], v[16:17]
	v_pk_fma_f32 v[16:17], v[0:1], v[72:73], 1.0 op_sel_hi:[0,1,0] neg_lo:[1,0,0] neg_hi:[1,0,0]
	v_cmp_lt_f32_e64 s[16:17], v73, v1
	v_cndmask_b32_e64 v17, v17, 1.0, s[0:1]
	v_cndmask_b32_e64 v16, v16, 1.0, vcc
	v_cndmask_b32_e64 v75, 0, 1.0, s[16:17]
	v_cndmask_b32_e64 v74, 0, 1.0, s[12:13]
	v_pk_mul_f32 v[16:17], v[74:75], v[16:17]
	v_cmp_lt_f32_e64 s[12:13], v73, v70
	v_pk_mul_f32 v[16:17], v[60:61], v[16:17] op_sel_hi:[0,1]
	v_cmp_lt_f32_e64 s[16:17], v72, v70
	v_cndmask_b32_e64 v17, v17, -|v17|, s[34:35]
	v_cndmask_b32_e64 v16, v16, -|v16|, s[34:35]
	s_and_b64 s[16:17], s[10:11], s[16:17]
	s_and_b64 s[12:13], s[10:11], s[12:13]
	v_pk_fma_f32 v[6:7], v[16:17], s[28:29], v[6:7] op_sel_hi:[1,0,1]
	v_pk_fma_f32 v[16:17], v[2:3], v[72:73], 1.0 op_sel_hi:[0,1,0] neg_lo:[1,0,0] neg_hi:[1,0,0]
	v_cndmask_b32_e64 v73, 0, 1.0, s[12:13]
	v_cndmask_b32_e64 v72, 0, 1.0, s[16:17]
	v_pk_mul_f32 v[72:73], v[12:13], v[72:73] op_sel_hi:[0,1]
	v_cndmask_b32_e64 v17, v17, 1.0, s[0:1]
	v_cndmask_b32_e64 v16, v16, 1.0, vcc
	v_pk_fma_f32 v[16:17], v[16:17], v[72:73], v[6:7]
	scratch_load_dword v3, off, off offset:3352 ; 4-byte Folded Reload
	scratch_load_dwordx2 v[6:7], off, off offset:3356 ; 8-byte Folded Reload
	scratch_load_dwordx2 v[72:73], off, off offset:3368 ; 8-byte Folded Reload
	s_waitcnt vmcnt(2)
	v_sub_f32_e32 v3, v3, v5
	s_waitcnt vmcnt(1)
	v_pk_add_f32 v[6:7], v[6:7], v[10:11] neg_lo:[0,1] neg_hi:[0,1]
	s_waitcnt vmcnt(0)
	v_pk_add_f32 v[72:73], v[72:73], v[10:11] neg_lo:[0,1] neg_hi:[0,1]
	v_pk_mul_f32 v[6:7], v[6:7], v[6:7]
	v_pk_mul_f32 v[72:73], v[72:73], v[72:73]
	v_fma_f32 v3, v3, v3, v6
	v_add_f32_e32 v3, v3, v7
	v_cmp_gt_f32_e32 vcc, s39, v3
	v_mul_f32_e32 v4, 0x4f800000, v3
	s_nop 0
	v_cndmask_b32_e32 v3, v3, v4, vcc
	v_sqrt_f32_e32 v4, v3
	s_nop 0
	v_add_u32_e32 v6, -1, v4
	v_fma_f32 v7, -v6, v4, v3
	v_cmp_ge_f32_e64 s[0:1], 0, v7
	v_add_u32_e32 v7, 1, v4
	s_nop 0
	v_cndmask_b32_e64 v6, v4, v6, s[0:1]
	v_fma_f32 v4, -v7, v4, v3
	v_cmp_lt_f32_e64 s[0:1], 0, v4
	s_nop 1
	v_cndmask_b32_e64 v4, v6, v7, s[0:1]
	v_mul_f32_e32 v6, 0x37800000, v4
	v_cndmask_b32_e32 v4, v4, v6, vcc
	v_cmp_class_f32_e32 vcc, v3, v9
	s_nop 1
	v_cndmask_b32_e32 v6, v4, v3, vcc
	scratch_load_dword v3, off, off offset:3364 ; 4-byte Folded Reload
	s_waitcnt vmcnt(0)
	v_sub_f32_e32 v3, v3, v5
	v_fma_f32 v3, v3, v3, v72
	v_add_f32_e32 v3, v3, v73
	v_cmp_gt_f32_e32 vcc, s39, v3
	v_mul_f32_e32 v4, 0x4f800000, v3
	s_nop 0
	v_cndmask_b32_e32 v3, v3, v4, vcc
	v_sqrt_f32_e32 v4, v3
	s_nop 0
	v_add_u32_e32 v7, -1, v4
	v_fma_f32 v72, -v7, v4, v3
	v_cmp_ge_f32_e64 s[0:1], 0, v72
	v_add_u32_e32 v72, 1, v4
	s_nop 0
	v_cndmask_b32_e64 v7, v4, v7, s[0:1]
	v_fma_f32 v4, -v72, v4, v3
	v_cmp_lt_f32_e64 s[0:1], 0, v4
	s_nop 1
	v_cndmask_b32_e64 v4, v7, v72, s[0:1]
	v_mul_f32_e32 v7, 0x37800000, v4
	v_cndmask_b32_e32 v4, v4, v7, vcc
	v_cmp_class_f32_e32 vcc, v3, v9
	s_nop 1
	v_cndmask_b32_e32 v7, v4, v3, vcc
	v_pk_add_f32 v[72:73], v[6:7], v[8:9] op_sel_hi:[1,0] neg_lo:[0,1] neg_hi:[0,1]
	v_pk_fma_f32 v[6:7], v[62:63], v[6:7], 1.0 op_sel_hi:[0,1,0] neg_lo:[1,0,0] neg_hi:[1,0,0]
	v_cmp_gt_f32_e32 vcc, 0, v72
	v_cmp_gt_f32_e64 s[0:1], 0, v73
	v_cmp_lt_f32_e64 s[12:13], v72, v1
	v_cndmask_b32_e32 v74, 0, v61, vcc
	v_cndmask_b32_e64 v75, 0, v61, s[0:1]
	v_pk_fma_f32 v[6:7], v[6:7], v[74:75], v[18:19]
	v_pk_fma_f32 v[18:19], v[0:1], v[72:73], 1.0 op_sel_hi:[0,1,0] neg_lo:[1,0,0] neg_hi:[1,0,0]
	v_cmp_lt_f32_e64 s[16:17], v73, v1
	v_cndmask_b32_e64 v19, v19, 1.0, s[0:1]
	v_cndmask_b32_e64 v18, v18, 1.0, vcc
	v_cndmask_b32_e64 v75, 0, 1.0, s[16:17]
	v_cndmask_b32_e64 v74, 0, 1.0, s[12:13]
	v_pk_mul_f32 v[18:19], v[74:75], v[18:19]
	v_cmp_lt_f32_e64 s[12:13], v73, v70
	v_pk_mul_f32 v[18:19], v[60:61], v[18:19] op_sel_hi:[0,1]
	v_cmp_lt_f32_e64 s[16:17], v72, v70
	v_cndmask_b32_e64 v19, v19, -|v19|, s[34:35]
	v_cndmask_b32_e64 v18, v18, -|v18|, s[34:35]
	s_and_b64 s[16:17], s[10:11], s[16:17]
	s_and_b64 s[12:13], s[10:11], s[12:13]
	v_pk_fma_f32 v[6:7], v[18:19], s[28:29], v[6:7] op_sel_hi:[1,0,1]
	v_pk_fma_f32 v[18:19], v[2:3], v[72:73], 1.0 op_sel_hi:[0,1,0] neg_lo:[1,0,0] neg_hi:[1,0,0]
	v_cndmask_b32_e64 v73, 0, 1.0, s[12:13]
	v_cndmask_b32_e64 v72, 0, 1.0, s[16:17]
	v_pk_mul_f32 v[72:73], v[12:13], v[72:73] op_sel_hi:[0,1]
	v_cndmask_b32_e64 v19, v19, 1.0, s[0:1]
	v_cndmask_b32_e64 v18, v18, 1.0, vcc
	v_pk_fma_f32 v[18:19], v[18:19], v[72:73], v[6:7]
	scratch_load_dword v3, off, off offset:3376 ; 4-byte Folded Reload
	scratch_load_dwordx2 v[6:7], off, off offset:3380 ; 8-byte Folded Reload
	scratch_load_dwordx2 v[72:73], off, off offset:3392 ; 8-byte Folded Reload
	s_waitcnt vmcnt(2)
	v_sub_f32_e32 v3, v3, v5
	s_waitcnt vmcnt(1)
	v_pk_add_f32 v[6:7], v[6:7], v[10:11] neg_lo:[0,1] neg_hi:[0,1]
	s_waitcnt vmcnt(0)
	v_pk_add_f32 v[72:73], v[72:73], v[10:11] neg_lo:[0,1] neg_hi:[0,1]
	v_pk_mul_f32 v[6:7], v[6:7], v[6:7]
	v_pk_mul_f32 v[72:73], v[72:73], v[72:73]
	v_fma_f32 v3, v3, v3, v6
	v_add_f32_e32 v3, v3, v7
	v_cmp_gt_f32_e32 vcc, s39, v3
	v_mul_f32_e32 v4, 0x4f800000, v3
	s_nop 0
	v_cndmask_b32_e32 v3, v3, v4, vcc
	v_sqrt_f32_e32 v4, v3
	s_nop 0
	v_add_u32_e32 v6, -1, v4
	v_fma_f32 v7, -v6, v4, v3
	v_cmp_ge_f32_e64 s[0:1], 0, v7
	v_add_u32_e32 v7, 1, v4
	s_nop 0
	v_cndmask_b32_e64 v6, v4, v6, s[0:1]
	v_fma_f32 v4, -v7, v4, v3
	v_cmp_lt_f32_e64 s[0:1], 0, v4
	s_nop 1
	v_cndmask_b32_e64 v4, v6, v7, s[0:1]
	v_mul_f32_e32 v6, 0x37800000, v4
	v_cndmask_b32_e32 v4, v4, v6, vcc
	v_cmp_class_f32_e32 vcc, v3, v9
	s_nop 1
	v_cndmask_b32_e32 v6, v4, v3, vcc
	scratch_load_dword v3, off, off offset:3388 ; 4-byte Folded Reload
	s_waitcnt vmcnt(0)
	v_sub_f32_e32 v3, v3, v5
	v_fma_f32 v3, v3, v3, v72
	v_add_f32_e32 v3, v3, v73
	v_cmp_gt_f32_e32 vcc, s39, v3
	v_mul_f32_e32 v4, 0x4f800000, v3
	s_nop 0
	v_cndmask_b32_e32 v3, v3, v4, vcc
	v_sqrt_f32_e32 v4, v3
	s_nop 0
	v_add_u32_e32 v7, -1, v4
	v_fma_f32 v72, -v7, v4, v3
	v_cmp_ge_f32_e64 s[0:1], 0, v72
	v_add_u32_e32 v72, 1, v4
	s_nop 0
	v_cndmask_b32_e64 v7, v4, v7, s[0:1]
	v_fma_f32 v4, -v72, v4, v3
	v_cmp_lt_f32_e64 s[0:1], 0, v4
	s_nop 1
	v_cndmask_b32_e64 v4, v7, v72, s[0:1]
	v_mul_f32_e32 v7, 0x37800000, v4
	v_cndmask_b32_e32 v4, v4, v7, vcc
	v_cmp_class_f32_e32 vcc, v3, v9
	s_nop 1
	v_cndmask_b32_e32 v7, v4, v3, vcc
	v_pk_add_f32 v[72:73], v[6:7], v[8:9] op_sel_hi:[1,0] neg_lo:[0,1] neg_hi:[0,1]
	v_pk_fma_f32 v[6:7], v[62:63], v[6:7], 1.0 op_sel_hi:[0,1,0] neg_lo:[1,0,0] neg_hi:[1,0,0]
	v_cmp_gt_f32_e32 vcc, 0, v72
	v_cmp_gt_f32_e64 s[0:1], 0, v73
	v_cmp_lt_f32_e64 s[12:13], v72, v1
	v_cndmask_b32_e32 v74, 0, v61, vcc
	v_cndmask_b32_e64 v75, 0, v61, s[0:1]
	v_pk_fma_f32 v[6:7], v[6:7], v[74:75], v[50:51]
	v_pk_fma_f32 v[50:51], v[0:1], v[72:73], 1.0 op_sel_hi:[0,1,0] neg_lo:[1,0,0] neg_hi:[1,0,0]
	v_cmp_lt_f32_e64 s[16:17], v73, v1
	v_cndmask_b32_e64 v51, v51, 1.0, s[0:1]
	v_cndmask_b32_e64 v50, v50, 1.0, vcc
	v_cndmask_b32_e64 v75, 0, 1.0, s[16:17]
	v_cndmask_b32_e64 v74, 0, 1.0, s[12:13]
	v_pk_mul_f32 v[50:51], v[74:75], v[50:51]
	v_cmp_lt_f32_e64 s[12:13], v73, v70
	v_pk_mul_f32 v[50:51], v[60:61], v[50:51] op_sel_hi:[0,1]
	v_cmp_lt_f32_e64 s[16:17], v72, v70
	v_cndmask_b32_e64 v51, v51, -|v51|, s[34:35]
	v_cndmask_b32_e64 v50, v50, -|v50|, s[34:35]
	s_and_b64 s[16:17], s[10:11], s[16:17]
	s_and_b64 s[12:13], s[10:11], s[12:13]
	v_pk_fma_f32 v[6:7], v[50:51], s[28:29], v[6:7] op_sel_hi:[1,0,1]
	v_pk_fma_f32 v[50:51], v[2:3], v[72:73], 1.0 op_sel_hi:[0,1,0] neg_lo:[1,0,0] neg_hi:[1,0,0]
	v_cndmask_b32_e64 v73, 0, 1.0, s[12:13]
	v_cndmask_b32_e64 v72, 0, 1.0, s[16:17]
	v_pk_mul_f32 v[72:73], v[12:13], v[72:73] op_sel_hi:[0,1]
	v_cndmask_b32_e64 v51, v51, 1.0, s[0:1]
	v_cndmask_b32_e64 v50, v50, 1.0, vcc
	v_pk_fma_f32 v[50:51], v[50:51], v[72:73], v[6:7]
	scratch_load_dword v3, off, off offset:3400 ; 4-byte Folded Reload
	scratch_load_dwordx2 v[6:7], off, off offset:3404 ; 8-byte Folded Reload
	scratch_load_dwordx2 v[72:73], off, off offset:3416 ; 8-byte Folded Reload
	s_waitcnt vmcnt(2)
	v_sub_f32_e32 v3, v3, v5
	s_waitcnt vmcnt(1)
	v_pk_add_f32 v[6:7], v[6:7], v[10:11] neg_lo:[0,1] neg_hi:[0,1]
	s_waitcnt vmcnt(0)
	v_pk_add_f32 v[72:73], v[72:73], v[10:11] neg_lo:[0,1] neg_hi:[0,1]
	v_pk_mul_f32 v[6:7], v[6:7], v[6:7]
	v_pk_mul_f32 v[72:73], v[72:73], v[72:73]
	v_fma_f32 v3, v3, v3, v6
	v_add_f32_e32 v3, v3, v7
	v_cmp_gt_f32_e32 vcc, s39, v3
	v_mul_f32_e32 v4, 0x4f800000, v3
	s_nop 0
	v_cndmask_b32_e32 v3, v3, v4, vcc
	v_sqrt_f32_e32 v4, v3
	s_nop 0
	v_add_u32_e32 v6, -1, v4
	v_fma_f32 v7, -v6, v4, v3
	v_cmp_ge_f32_e64 s[0:1], 0, v7
	v_add_u32_e32 v7, 1, v4
	s_nop 0
	v_cndmask_b32_e64 v6, v4, v6, s[0:1]
	v_fma_f32 v4, -v7, v4, v3
	v_cmp_lt_f32_e64 s[0:1], 0, v4
	s_nop 1
	v_cndmask_b32_e64 v4, v6, v7, s[0:1]
	v_mul_f32_e32 v6, 0x37800000, v4
	v_cndmask_b32_e32 v4, v4, v6, vcc
	v_cmp_class_f32_e32 vcc, v3, v9
	s_nop 1
	v_cndmask_b32_e32 v6, v4, v3, vcc
	scratch_load_dword v3, off, off offset:3412 ; 4-byte Folded Reload
	s_waitcnt vmcnt(0)
	v_sub_f32_e32 v3, v3, v5
	v_fma_f32 v3, v3, v3, v72
	v_add_f32_e32 v3, v3, v73
	v_cmp_gt_f32_e32 vcc, s39, v3
	v_mul_f32_e32 v4, 0x4f800000, v3
	s_nop 0
	v_cndmask_b32_e32 v3, v3, v4, vcc
	v_sqrt_f32_e32 v4, v3
	s_nop 0
	v_add_u32_e32 v7, -1, v4
	v_fma_f32 v72, -v7, v4, v3
	v_cmp_ge_f32_e64 s[0:1], 0, v72
	v_add_u32_e32 v72, 1, v4
	s_nop 0
	v_cndmask_b32_e64 v7, v4, v7, s[0:1]
	v_fma_f32 v4, -v72, v4, v3
	v_cmp_lt_f32_e64 s[0:1], 0, v4
	s_nop 1
	v_cndmask_b32_e64 v4, v7, v72, s[0:1]
	v_mul_f32_e32 v7, 0x37800000, v4
	v_cndmask_b32_e32 v4, v4, v7, vcc
	v_cmp_class_f32_e32 vcc, v3, v9
	s_nop 1
	v_cndmask_b32_e32 v7, v4, v3, vcc
	v_pk_add_f32 v[72:73], v[6:7], v[8:9] op_sel_hi:[1,0] neg_lo:[0,1] neg_hi:[0,1]
	v_pk_fma_f32 v[6:7], v[62:63], v[6:7], 1.0 op_sel_hi:[0,1,0] neg_lo:[1,0,0] neg_hi:[1,0,0]
	v_cmp_gt_f32_e32 vcc, 0, v72
	v_cmp_gt_f32_e64 s[0:1], 0, v73
	v_cmp_lt_f32_e64 s[12:13], v72, v1
	v_cndmask_b32_e32 v74, 0, v61, vcc
	v_cndmask_b32_e64 v75, 0, v61, s[0:1]
	v_pk_fma_f32 v[6:7], v[6:7], v[74:75], v[52:53]
	v_pk_fma_f32 v[52:53], v[0:1], v[72:73], 1.0 op_sel_hi:[0,1,0] neg_lo:[1,0,0] neg_hi:[1,0,0]
	v_cmp_lt_f32_e64 s[16:17], v73, v1
	v_cndmask_b32_e64 v53, v53, 1.0, s[0:1]
	v_cndmask_b32_e64 v52, v52, 1.0, vcc
	v_cndmask_b32_e64 v75, 0, 1.0, s[16:17]
	v_cndmask_b32_e64 v74, 0, 1.0, s[12:13]
	v_pk_mul_f32 v[52:53], v[74:75], v[52:53]
	v_cmp_lt_f32_e64 s[12:13], v73, v70
	v_pk_mul_f32 v[52:53], v[60:61], v[52:53] op_sel_hi:[0,1]
	v_cmp_lt_f32_e64 s[16:17], v72, v70
	v_cndmask_b32_e64 v53, v53, -|v53|, s[34:35]
	v_cndmask_b32_e64 v52, v52, -|v52|, s[34:35]
	s_and_b64 s[16:17], s[10:11], s[16:17]
	s_and_b64 s[12:13], s[10:11], s[12:13]
	v_pk_fma_f32 v[6:7], v[52:53], s[28:29], v[6:7] op_sel_hi:[1,0,1]
	v_pk_fma_f32 v[52:53], v[2:3], v[72:73], 1.0 op_sel_hi:[0,1,0] neg_lo:[1,0,0] neg_hi:[1,0,0]
	v_cndmask_b32_e64 v73, 0, 1.0, s[12:13]
	v_cndmask_b32_e64 v72, 0, 1.0, s[16:17]
	v_pk_mul_f32 v[72:73], v[12:13], v[72:73] op_sel_hi:[0,1]
	v_cndmask_b32_e64 v53, v53, 1.0, s[0:1]
	v_cndmask_b32_e64 v52, v52, 1.0, vcc
	v_pk_fma_f32 v[52:53], v[52:53], v[72:73], v[6:7]
	scratch_load_dword v3, off, off offset:3424 ; 4-byte Folded Reload
	scratch_load_dwordx2 v[6:7], off, off offset:3428 ; 8-byte Folded Reload
	scratch_load_dwordx2 v[72:73], off, off offset:3440 ; 8-byte Folded Reload
	s_waitcnt vmcnt(2)
	v_sub_f32_e32 v3, v3, v5
	s_waitcnt vmcnt(1)
	v_pk_add_f32 v[6:7], v[6:7], v[10:11] neg_lo:[0,1] neg_hi:[0,1]
	s_waitcnt vmcnt(0)
	v_pk_add_f32 v[72:73], v[72:73], v[10:11] neg_lo:[0,1] neg_hi:[0,1]
	v_pk_mul_f32 v[6:7], v[6:7], v[6:7]
	v_pk_mul_f32 v[72:73], v[72:73], v[72:73]
	v_fma_f32 v3, v3, v3, v6
	v_add_f32_e32 v3, v3, v7
	v_cmp_gt_f32_e32 vcc, s39, v3
	v_mul_f32_e32 v4, 0x4f800000, v3
	s_nop 0
	v_cndmask_b32_e32 v3, v3, v4, vcc
	v_sqrt_f32_e32 v4, v3
	s_nop 0
	v_add_u32_e32 v6, -1, v4
	v_fma_f32 v7, -v6, v4, v3
	v_cmp_ge_f32_e64 s[0:1], 0, v7
	v_add_u32_e32 v7, 1, v4
	s_nop 0
	v_cndmask_b32_e64 v6, v4, v6, s[0:1]
	v_fma_f32 v4, -v7, v4, v3
	v_cmp_lt_f32_e64 s[0:1], 0, v4
	s_nop 1
	v_cndmask_b32_e64 v4, v6, v7, s[0:1]
	v_mul_f32_e32 v6, 0x37800000, v4
	v_cndmask_b32_e32 v4, v4, v6, vcc
	v_cmp_class_f32_e32 vcc, v3, v9
	s_nop 1
	v_cndmask_b32_e32 v6, v4, v3, vcc
	scratch_load_dword v3, off, off offset:3436 ; 4-byte Folded Reload
	s_waitcnt vmcnt(0)
	v_sub_f32_e32 v3, v3, v5
	v_fma_f32 v3, v3, v3, v72
	v_add_f32_e32 v3, v3, v73
	v_cmp_gt_f32_e32 vcc, s39, v3
	v_mul_f32_e32 v4, 0x4f800000, v3
	s_nop 0
	v_cndmask_b32_e32 v3, v3, v4, vcc
	v_sqrt_f32_e32 v4, v3
	s_nop 0
	v_add_u32_e32 v7, -1, v4
	v_fma_f32 v72, -v7, v4, v3
	v_cmp_ge_f32_e64 s[0:1], 0, v72
	v_add_u32_e32 v72, 1, v4
	s_nop 0
	v_cndmask_b32_e64 v7, v4, v7, s[0:1]
	v_fma_f32 v4, -v72, v4, v3
	v_cmp_lt_f32_e64 s[0:1], 0, v4
	s_nop 1
	v_cndmask_b32_e64 v4, v7, v72, s[0:1]
	v_mul_f32_e32 v7, 0x37800000, v4
	v_cndmask_b32_e32 v4, v4, v7, vcc
	v_cmp_class_f32_e32 vcc, v3, v9
	s_nop 1
	v_cndmask_b32_e32 v7, v4, v3, vcc
	v_pk_add_f32 v[72:73], v[6:7], v[8:9] op_sel_hi:[1,0] neg_lo:[0,1] neg_hi:[0,1]
	v_pk_fma_f32 v[6:7], v[62:63], v[6:7], 1.0 op_sel_hi:[0,1,0] neg_lo:[1,0,0] neg_hi:[1,0,0]
	v_cmp_gt_f32_e32 vcc, 0, v72
	v_cmp_gt_f32_e64 s[0:1], 0, v73
	v_cmp_lt_f32_e64 s[12:13], v72, v1
	v_cndmask_b32_e32 v74, 0, v61, vcc
	v_cndmask_b32_e64 v75, 0, v61, s[0:1]
	v_pk_fma_f32 v[6:7], v[6:7], v[74:75], v[30:31]
	v_pk_fma_f32 v[30:31], v[0:1], v[72:73], 1.0 op_sel_hi:[0,1,0] neg_lo:[1,0,0] neg_hi:[1,0,0]
	v_cmp_lt_f32_e64 s[16:17], v73, v1
	v_cndmask_b32_e64 v31, v31, 1.0, s[0:1]
	v_cndmask_b32_e64 v30, v30, 1.0, vcc
	v_cndmask_b32_e64 v75, 0, 1.0, s[16:17]
	v_cndmask_b32_e64 v74, 0, 1.0, s[12:13]
	v_pk_mul_f32 v[30:31], v[74:75], v[30:31]
	v_cmp_lt_f32_e64 s[12:13], v73, v70
	v_pk_mul_f32 v[30:31], v[60:61], v[30:31] op_sel_hi:[0,1]
	v_cmp_lt_f32_e64 s[16:17], v72, v70
	v_cndmask_b32_e64 v31, v31, -|v31|, s[34:35]
	v_cndmask_b32_e64 v30, v30, -|v30|, s[34:35]
	s_and_b64 s[16:17], s[10:11], s[16:17]
	s_and_b64 s[12:13], s[10:11], s[12:13]
	v_pk_fma_f32 v[6:7], v[30:31], s[28:29], v[6:7] op_sel_hi:[1,0,1]
	v_pk_fma_f32 v[30:31], v[2:3], v[72:73], 1.0 op_sel_hi:[0,1,0] neg_lo:[1,0,0] neg_hi:[1,0,0]
	v_cndmask_b32_e64 v73, 0, 1.0, s[12:13]
	v_cndmask_b32_e64 v72, 0, 1.0, s[16:17]
	v_pk_mul_f32 v[72:73], v[12:13], v[72:73] op_sel_hi:[0,1]
	v_cndmask_b32_e64 v31, v31, 1.0, s[0:1]
	v_cndmask_b32_e64 v30, v30, 1.0, vcc
	v_pk_fma_f32 v[30:31], v[30:31], v[72:73], v[6:7]
	scratch_load_dword v3, off, off offset:3448 ; 4-byte Folded Reload
	scratch_load_dwordx2 v[6:7], off, off offset:3452 ; 8-byte Folded Reload
	scratch_load_dwordx2 v[72:73], off, off offset:3464 ; 8-byte Folded Reload
	s_waitcnt vmcnt(2)
	v_sub_f32_e32 v3, v3, v5
	s_waitcnt vmcnt(1)
	v_pk_add_f32 v[6:7], v[6:7], v[10:11] neg_lo:[0,1] neg_hi:[0,1]
	s_waitcnt vmcnt(0)
	v_pk_add_f32 v[72:73], v[72:73], v[10:11] neg_lo:[0,1] neg_hi:[0,1]
	v_pk_mul_f32 v[6:7], v[6:7], v[6:7]
	v_pk_mul_f32 v[72:73], v[72:73], v[72:73]
	v_fma_f32 v3, v3, v3, v6
	v_add_f32_e32 v3, v3, v7
	v_cmp_gt_f32_e32 vcc, s39, v3
	v_mul_f32_e32 v4, 0x4f800000, v3
	s_nop 0
	v_cndmask_b32_e32 v3, v3, v4, vcc
	v_sqrt_f32_e32 v4, v3
	s_nop 0
	v_add_u32_e32 v6, -1, v4
	v_fma_f32 v7, -v6, v4, v3
	v_cmp_ge_f32_e64 s[0:1], 0, v7
	v_add_u32_e32 v7, 1, v4
	s_nop 0
	v_cndmask_b32_e64 v6, v4, v6, s[0:1]
	v_fma_f32 v4, -v7, v4, v3
	v_cmp_lt_f32_e64 s[0:1], 0, v4
	s_nop 1
	v_cndmask_b32_e64 v4, v6, v7, s[0:1]
	v_mul_f32_e32 v6, 0x37800000, v4
	v_cndmask_b32_e32 v4, v4, v6, vcc
	v_cmp_class_f32_e32 vcc, v3, v9
	s_nop 1
	v_cndmask_b32_e32 v6, v4, v3, vcc
	scratch_load_dword v3, off, off offset:3460 ; 4-byte Folded Reload
	s_waitcnt vmcnt(0)
	v_sub_f32_e32 v3, v3, v5
	v_fma_f32 v3, v3, v3, v72
	v_add_f32_e32 v3, v3, v73
	v_cmp_gt_f32_e32 vcc, s39, v3
	v_mul_f32_e32 v4, 0x4f800000, v3
	s_nop 0
	v_cndmask_b32_e32 v3, v3, v4, vcc
	v_sqrt_f32_e32 v4, v3
	s_nop 0
	v_add_u32_e32 v7, -1, v4
	v_fma_f32 v72, -v7, v4, v3
	v_cmp_ge_f32_e64 s[0:1], 0, v72
	v_add_u32_e32 v72, 1, v4
	s_nop 0
	v_cndmask_b32_e64 v7, v4, v7, s[0:1]
	v_fma_f32 v4, -v72, v4, v3
	v_cmp_lt_f32_e64 s[0:1], 0, v4
	s_nop 1
	v_cndmask_b32_e64 v4, v7, v72, s[0:1]
	v_mul_f32_e32 v7, 0x37800000, v4
	v_cndmask_b32_e32 v4, v4, v7, vcc
	v_cmp_class_f32_e32 vcc, v3, v9
	s_nop 1
	v_cndmask_b32_e32 v7, v4, v3, vcc
	v_pk_add_f32 v[72:73], v[6:7], v[8:9] op_sel_hi:[1,0] neg_lo:[0,1] neg_hi:[0,1]
	v_pk_fma_f32 v[6:7], v[62:63], v[6:7], 1.0 op_sel_hi:[0,1,0] neg_lo:[1,0,0] neg_hi:[1,0,0]
	v_cmp_gt_f32_e32 vcc, 0, v72
	v_cmp_gt_f32_e64 s[0:1], 0, v73
	v_cmp_lt_f32_e64 s[12:13], v72, v1
	v_cndmask_b32_e32 v74, 0, v61, vcc
	v_cndmask_b32_e64 v75, 0, v61, s[0:1]
	v_pk_fma_f32 v[6:7], v[6:7], v[74:75], v[32:33]
	v_pk_fma_f32 v[32:33], v[0:1], v[72:73], 1.0 op_sel_hi:[0,1,0] neg_lo:[1,0,0] neg_hi:[1,0,0]
	v_cmp_lt_f32_e64 s[16:17], v73, v1
	v_cndmask_b32_e64 v33, v33, 1.0, s[0:1]
	v_cndmask_b32_e64 v32, v32, 1.0, vcc
	v_cndmask_b32_e64 v75, 0, 1.0, s[16:17]
	v_cndmask_b32_e64 v74, 0, 1.0, s[12:13]
	v_pk_mul_f32 v[32:33], v[74:75], v[32:33]
	v_cmp_lt_f32_e64 s[12:13], v73, v70
	v_pk_mul_f32 v[32:33], v[60:61], v[32:33] op_sel_hi:[0,1]
	v_cmp_lt_f32_e64 s[16:17], v72, v70
	v_cndmask_b32_e64 v33, v33, -|v33|, s[34:35]
	v_cndmask_b32_e64 v32, v32, -|v32|, s[34:35]
	s_and_b64 s[16:17], s[10:11], s[16:17]
	s_and_b64 s[12:13], s[10:11], s[12:13]
	v_pk_fma_f32 v[6:7], v[32:33], s[28:29], v[6:7] op_sel_hi:[1,0,1]
	v_pk_fma_f32 v[32:33], v[2:3], v[72:73], 1.0 op_sel_hi:[0,1,0] neg_lo:[1,0,0] neg_hi:[1,0,0]
	v_cndmask_b32_e64 v73, 0, 1.0, s[12:13]
	v_cndmask_b32_e64 v72, 0, 1.0, s[16:17]
	v_pk_mul_f32 v[72:73], v[12:13], v[72:73] op_sel_hi:[0,1]
	v_cndmask_b32_e64 v33, v33, 1.0, s[0:1]
	v_cndmask_b32_e64 v32, v32, 1.0, vcc
	v_pk_fma_f32 v[32:33], v[32:33], v[72:73], v[6:7]
	scratch_load_dword v3, off, off offset:3472 ; 4-byte Folded Reload
	scratch_load_dwordx2 v[6:7], off, off offset:3476 ; 8-byte Folded Reload
	scratch_load_dwordx2 v[72:73], off, off offset:3488 ; 8-byte Folded Reload
	s_waitcnt vmcnt(2)
	v_sub_f32_e32 v3, v3, v5
	s_waitcnt vmcnt(1)
	v_pk_add_f32 v[6:7], v[6:7], v[10:11] neg_lo:[0,1] neg_hi:[0,1]
	s_waitcnt vmcnt(0)
	v_pk_add_f32 v[72:73], v[72:73], v[10:11] neg_lo:[0,1] neg_hi:[0,1]
	v_pk_mul_f32 v[6:7], v[6:7], v[6:7]
	v_pk_mul_f32 v[72:73], v[72:73], v[72:73]
	v_fma_f32 v3, v3, v3, v6
	v_add_f32_e32 v3, v3, v7
	v_cmp_gt_f32_e32 vcc, s39, v3
	v_mul_f32_e32 v4, 0x4f800000, v3
	s_nop 0
	v_cndmask_b32_e32 v3, v3, v4, vcc
	v_sqrt_f32_e32 v4, v3
	s_nop 0
	v_add_u32_e32 v6, -1, v4
	v_fma_f32 v7, -v6, v4, v3
	v_cmp_ge_f32_e64 s[0:1], 0, v7
	v_add_u32_e32 v7, 1, v4
	s_nop 0
	v_cndmask_b32_e64 v6, v4, v6, s[0:1]
	v_fma_f32 v4, -v7, v4, v3
	v_cmp_lt_f32_e64 s[0:1], 0, v4
	s_nop 1
	v_cndmask_b32_e64 v4, v6, v7, s[0:1]
	v_mul_f32_e32 v6, 0x37800000, v4
	v_cndmask_b32_e32 v4, v4, v6, vcc
	v_cmp_class_f32_e32 vcc, v3, v9
	s_nop 1
	v_cndmask_b32_e32 v6, v4, v3, vcc
	scratch_load_dword v3, off, off offset:3484 ; 4-byte Folded Reload
	s_waitcnt vmcnt(0)
	v_sub_f32_e32 v3, v3, v5
	v_fma_f32 v3, v3, v3, v72
	v_add_f32_e32 v3, v3, v73
	v_cmp_gt_f32_e32 vcc, s39, v3
	v_mul_f32_e32 v4, 0x4f800000, v3
	s_nop 0
	v_cndmask_b32_e32 v3, v3, v4, vcc
	v_sqrt_f32_e32 v4, v3
	s_nop 0
	v_add_u32_e32 v7, -1, v4
	v_fma_f32 v72, -v7, v4, v3
	v_cmp_ge_f32_e64 s[0:1], 0, v72
	v_add_u32_e32 v72, 1, v4
	s_nop 0
	v_cndmask_b32_e64 v7, v4, v7, s[0:1]
	v_fma_f32 v4, -v72, v4, v3
	v_cmp_lt_f32_e64 s[0:1], 0, v4
	s_nop 1
	v_cndmask_b32_e64 v4, v7, v72, s[0:1]
	v_mul_f32_e32 v7, 0x37800000, v4
	v_cndmask_b32_e32 v4, v4, v7, vcc
	v_cmp_class_f32_e32 vcc, v3, v9
	s_nop 1
	v_cndmask_b32_e32 v7, v4, v3, vcc
	v_pk_add_f32 v[72:73], v[6:7], v[8:9] op_sel_hi:[1,0] neg_lo:[0,1] neg_hi:[0,1]
	v_pk_fma_f32 v[6:7], v[62:63], v[6:7], 1.0 op_sel_hi:[0,1,0] neg_lo:[1,0,0] neg_hi:[1,0,0]
	v_cmp_gt_f32_e32 vcc, 0, v72
	v_cmp_gt_f32_e64 s[0:1], 0, v73
	v_cmp_lt_f32_e64 s[12:13], v72, v1
	v_cndmask_b32_e32 v74, 0, v61, vcc
	v_cndmask_b32_e64 v75, 0, v61, s[0:1]
	v_pk_fma_f32 v[6:7], v[6:7], v[74:75], v[26:27]
	v_pk_fma_f32 v[26:27], v[0:1], v[72:73], 1.0 op_sel_hi:[0,1,0] neg_lo:[1,0,0] neg_hi:[1,0,0]
	v_cmp_lt_f32_e64 s[16:17], v73, v1
	v_cndmask_b32_e64 v27, v27, 1.0, s[0:1]
	v_cndmask_b32_e64 v26, v26, 1.0, vcc
	v_cndmask_b32_e64 v75, 0, 1.0, s[16:17]
	v_cndmask_b32_e64 v74, 0, 1.0, s[12:13]
	v_pk_mul_f32 v[26:27], v[74:75], v[26:27]
	v_cmp_lt_f32_e64 s[12:13], v73, v70
	v_pk_mul_f32 v[26:27], v[60:61], v[26:27] op_sel_hi:[0,1]
	v_cmp_lt_f32_e64 s[16:17], v72, v70
	v_cndmask_b32_e64 v27, v27, -|v27|, s[34:35]
	v_cndmask_b32_e64 v26, v26, -|v26|, s[34:35]
	s_and_b64 s[16:17], s[10:11], s[16:17]
	s_and_b64 s[12:13], s[10:11], s[12:13]
	v_pk_fma_f32 v[6:7], v[26:27], s[28:29], v[6:7] op_sel_hi:[1,0,1]
	v_pk_fma_f32 v[26:27], v[2:3], v[72:73], 1.0 op_sel_hi:[0,1,0] neg_lo:[1,0,0] neg_hi:[1,0,0]
	v_cndmask_b32_e64 v73, 0, 1.0, s[12:13]
	v_cndmask_b32_e64 v72, 0, 1.0, s[16:17]
	v_pk_mul_f32 v[72:73], v[12:13], v[72:73] op_sel_hi:[0,1]
	v_cndmask_b32_e64 v27, v27, 1.0, s[0:1]
	v_cndmask_b32_e64 v26, v26, 1.0, vcc
	v_pk_fma_f32 v[26:27], v[26:27], v[72:73], v[6:7]
	scratch_load_dword v3, off, off offset:3496 ; 4-byte Folded Reload
	scratch_load_dwordx2 v[6:7], off, off offset:3500 ; 8-byte Folded Reload
	scratch_load_dwordx2 v[72:73], off, off offset:3512 ; 8-byte Folded Reload
	s_waitcnt vmcnt(2)
	v_sub_f32_e32 v3, v3, v5
	s_waitcnt vmcnt(1)
	v_pk_add_f32 v[6:7], v[6:7], v[10:11] neg_lo:[0,1] neg_hi:[0,1]
	s_waitcnt vmcnt(0)
	v_pk_add_f32 v[72:73], v[72:73], v[10:11] neg_lo:[0,1] neg_hi:[0,1]
	v_pk_mul_f32 v[6:7], v[6:7], v[6:7]
	v_pk_mul_f32 v[72:73], v[72:73], v[72:73]
	v_fma_f32 v3, v3, v3, v6
	v_add_f32_e32 v3, v3, v7
	v_cmp_gt_f32_e32 vcc, s39, v3
	v_mul_f32_e32 v4, 0x4f800000, v3
	s_nop 0
	v_cndmask_b32_e32 v3, v3, v4, vcc
	v_sqrt_f32_e32 v4, v3
	s_nop 0
	v_add_u32_e32 v6, -1, v4
	v_fma_f32 v7, -v6, v4, v3
	v_cmp_ge_f32_e64 s[0:1], 0, v7
	v_add_u32_e32 v7, 1, v4
	s_nop 0
	v_cndmask_b32_e64 v6, v4, v6, s[0:1]
	v_fma_f32 v4, -v7, v4, v3
	v_cmp_lt_f32_e64 s[0:1], 0, v4
	s_nop 1
	v_cndmask_b32_e64 v4, v6, v7, s[0:1]
	v_mul_f32_e32 v6, 0x37800000, v4
	v_cndmask_b32_e32 v4, v4, v6, vcc
	v_cmp_class_f32_e32 vcc, v3, v9
	s_nop 1
	v_cndmask_b32_e32 v6, v4, v3, vcc
	scratch_load_dword v3, off, off offset:3508 ; 4-byte Folded Reload
	s_waitcnt vmcnt(0)
	v_sub_f32_e32 v3, v3, v5
	v_fma_f32 v3, v3, v3, v72
	v_add_f32_e32 v3, v3, v73
	v_cmp_gt_f32_e32 vcc, s39, v3
	v_mul_f32_e32 v4, 0x4f800000, v3
	s_nop 0
	v_cndmask_b32_e32 v3, v3, v4, vcc
	v_sqrt_f32_e32 v4, v3
	s_nop 0
	v_add_u32_e32 v7, -1, v4
	v_fma_f32 v72, -v7, v4, v3
	v_cmp_ge_f32_e64 s[0:1], 0, v72
	v_add_u32_e32 v72, 1, v4
	s_nop 0
	v_cndmask_b32_e64 v7, v4, v7, s[0:1]
	v_fma_f32 v4, -v72, v4, v3
	v_cmp_lt_f32_e64 s[0:1], 0, v4
	s_nop 1
	v_cndmask_b32_e64 v4, v7, v72, s[0:1]
	v_mul_f32_e32 v7, 0x37800000, v4
	v_cndmask_b32_e32 v4, v4, v7, vcc
	v_cmp_class_f32_e32 vcc, v3, v9
	s_nop 1
	v_cndmask_b32_e32 v7, v4, v3, vcc
	v_pk_add_f32 v[72:73], v[6:7], v[8:9] op_sel_hi:[1,0] neg_lo:[0,1] neg_hi:[0,1]
	v_pk_fma_f32 v[6:7], v[62:63], v[6:7], 1.0 op_sel_hi:[0,1,0] neg_lo:[1,0,0] neg_hi:[1,0,0]
	v_cmp_gt_f32_e32 vcc, 0, v72
	v_cmp_gt_f32_e64 s[0:1], 0, v73
	v_cmp_lt_f32_e64 s[12:13], v72, v1
	v_cndmask_b32_e32 v74, 0, v61, vcc
	v_cndmask_b32_e64 v75, 0, v61, s[0:1]
	v_pk_fma_f32 v[6:7], v[6:7], v[74:75], v[28:29]
	v_pk_fma_f32 v[28:29], v[0:1], v[72:73], 1.0 op_sel_hi:[0,1,0] neg_lo:[1,0,0] neg_hi:[1,0,0]
	v_cmp_lt_f32_e64 s[16:17], v73, v1
	v_cndmask_b32_e64 v29, v29, 1.0, s[0:1]
	v_cndmask_b32_e64 v28, v28, 1.0, vcc
	v_cndmask_b32_e64 v75, 0, 1.0, s[16:17]
	v_cndmask_b32_e64 v74, 0, 1.0, s[12:13]
	v_pk_mul_f32 v[28:29], v[74:75], v[28:29]
	v_cmp_lt_f32_e64 s[12:13], v73, v70
	v_pk_mul_f32 v[28:29], v[60:61], v[28:29] op_sel_hi:[0,1]
	v_cmp_lt_f32_e64 s[16:17], v72, v70
	v_cndmask_b32_e64 v29, v29, -|v29|, s[34:35]
	v_cndmask_b32_e64 v28, v28, -|v28|, s[34:35]
	s_and_b64 s[16:17], s[10:11], s[16:17]
	s_and_b64 s[12:13], s[10:11], s[12:13]
	v_pk_fma_f32 v[6:7], v[28:29], s[28:29], v[6:7] op_sel_hi:[1,0,1]
	v_pk_fma_f32 v[28:29], v[2:3], v[72:73], 1.0 op_sel_hi:[0,1,0] neg_lo:[1,0,0] neg_hi:[1,0,0]
	v_cndmask_b32_e64 v73, 0, 1.0, s[12:13]
	v_cndmask_b32_e64 v72, 0, 1.0, s[16:17]
	v_pk_mul_f32 v[72:73], v[12:13], v[72:73] op_sel_hi:[0,1]
	v_cndmask_b32_e64 v29, v29, 1.0, s[0:1]
	v_cndmask_b32_e64 v28, v28, 1.0, vcc
	v_pk_fma_f32 v[28:29], v[28:29], v[72:73], v[6:7]
	scratch_load_dword v3, off, off offset:3520 ; 4-byte Folded Reload
	scratch_load_dwordx2 v[6:7], off, off offset:3524 ; 8-byte Folded Reload
	scratch_load_dwordx2 v[72:73], off, off offset:3536 ; 8-byte Folded Reload
	s_waitcnt vmcnt(2)
	v_sub_f32_e32 v3, v3, v5
	s_waitcnt vmcnt(1)
	v_pk_add_f32 v[6:7], v[6:7], v[10:11] neg_lo:[0,1] neg_hi:[0,1]
	s_waitcnt vmcnt(0)
	v_pk_add_f32 v[72:73], v[72:73], v[10:11] neg_lo:[0,1] neg_hi:[0,1]
	v_pk_mul_f32 v[6:7], v[6:7], v[6:7]
	v_pk_mul_f32 v[72:73], v[72:73], v[72:73]
	v_fma_f32 v3, v3, v3, v6
	v_add_f32_e32 v3, v3, v7
	v_cmp_gt_f32_e32 vcc, s39, v3
	v_mul_f32_e32 v4, 0x4f800000, v3
	s_nop 0
	v_cndmask_b32_e32 v3, v3, v4, vcc
	v_sqrt_f32_e32 v4, v3
	s_nop 0
	v_add_u32_e32 v6, -1, v4
	v_fma_f32 v7, -v6, v4, v3
	v_cmp_ge_f32_e64 s[0:1], 0, v7
	v_add_u32_e32 v7, 1, v4
	s_nop 0
	v_cndmask_b32_e64 v6, v4, v6, s[0:1]
	v_fma_f32 v4, -v7, v4, v3
	v_cmp_lt_f32_e64 s[0:1], 0, v4
	s_nop 1
	v_cndmask_b32_e64 v4, v6, v7, s[0:1]
	v_mul_f32_e32 v6, 0x37800000, v4
	v_cndmask_b32_e32 v4, v4, v6, vcc
	v_cmp_class_f32_e32 vcc, v3, v9
	s_nop 1
	v_cndmask_b32_e32 v6, v4, v3, vcc
	scratch_load_dword v3, off, off offset:3532 ; 4-byte Folded Reload
	s_waitcnt vmcnt(0)
	v_sub_f32_e32 v3, v3, v5
	v_fma_f32 v3, v3, v3, v72
	v_add_f32_e32 v3, v3, v73
	v_cmp_gt_f32_e32 vcc, s39, v3
	v_mul_f32_e32 v4, 0x4f800000, v3
	s_nop 0
	v_cndmask_b32_e32 v3, v3, v4, vcc
	v_sqrt_f32_e32 v4, v3
	s_nop 0
	v_add_u32_e32 v7, -1, v4
	v_fma_f32 v72, -v7, v4, v3
	v_cmp_ge_f32_e64 s[0:1], 0, v72
	v_add_u32_e32 v72, 1, v4
	s_nop 0
	v_cndmask_b32_e64 v7, v4, v7, s[0:1]
	v_fma_f32 v4, -v72, v4, v3
	v_cmp_lt_f32_e64 s[0:1], 0, v4
	s_nop 1
	v_cndmask_b32_e64 v4, v7, v72, s[0:1]
	v_mul_f32_e32 v7, 0x37800000, v4
	v_cndmask_b32_e32 v4, v4, v7, vcc
	v_cmp_class_f32_e32 vcc, v3, v9
	s_nop 1
	v_cndmask_b32_e32 v7, v4, v3, vcc
	v_pk_add_f32 v[72:73], v[6:7], v[8:9] op_sel_hi:[1,0] neg_lo:[0,1] neg_hi:[0,1]
	v_pk_fma_f32 v[6:7], v[62:63], v[6:7], 1.0 op_sel_hi:[0,1,0] neg_lo:[1,0,0] neg_hi:[1,0,0]
	v_cmp_gt_f32_e32 vcc, 0, v72
	v_cmp_gt_f32_e64 s[0:1], 0, v73
	v_cmp_lt_f32_e64 s[12:13], v72, v1
	v_cndmask_b32_e32 v74, 0, v61, vcc
	v_cndmask_b32_e64 v75, 0, v61, s[0:1]
	v_pk_fma_f32 v[6:7], v[6:7], v[74:75], v[114:115]
	v_pk_fma_f32 v[74:75], v[0:1], v[72:73], 1.0 op_sel_hi:[0,1,0] neg_lo:[1,0,0] neg_hi:[1,0,0]
	v_cmp_lt_f32_e64 s[16:17], v73, v1
	v_cndmask_b32_e64 v75, v75, 1.0, s[0:1]
	v_cndmask_b32_e64 v74, v74, 1.0, vcc
	v_cndmask_b32_e64 v115, 0, 1.0, s[16:17]
	v_cndmask_b32_e64 v114, 0, 1.0, s[12:13]
	v_pk_mul_f32 v[74:75], v[114:115], v[74:75]
	v_cmp_lt_f32_e64 s[12:13], v73, v70
	v_pk_mul_f32 v[74:75], v[60:61], v[74:75] op_sel_hi:[0,1]
	v_cmp_lt_f32_e64 s[16:17], v72, v70
	v_cndmask_b32_e64 v75, v75, -|v75|, s[34:35]
	v_cndmask_b32_e64 v74, v74, -|v74|, s[34:35]
	s_and_b64 s[16:17], s[10:11], s[16:17]
	s_and_b64 s[12:13], s[10:11], s[12:13]
	v_pk_fma_f32 v[6:7], v[74:75], s[28:29], v[6:7] op_sel_hi:[1,0,1]
	v_pk_fma_f32 v[74:75], v[2:3], v[72:73], 1.0 op_sel_hi:[0,1,0] neg_lo:[1,0,0] neg_hi:[1,0,0]
	v_cndmask_b32_e64 v73, 0, 1.0, s[12:13]
	v_cndmask_b32_e64 v72, 0, 1.0, s[16:17]
	v_pk_mul_f32 v[72:73], v[12:13], v[72:73] op_sel_hi:[0,1]
	v_cndmask_b32_e64 v75, v75, 1.0, s[0:1]
	v_cndmask_b32_e64 v74, v74, 1.0, vcc
	v_pk_fma_f32 v[114:115], v[74:75], v[72:73], v[6:7]
	scratch_load_dword v3, off, off offset:3544 ; 4-byte Folded Reload
	scratch_load_dwordx2 v[6:7], off, off offset:3548 ; 8-byte Folded Reload
	scratch_load_dwordx2 v[72:73], off, off offset:3560 ; 8-byte Folded Reload
	s_waitcnt vmcnt(2)
	v_sub_f32_e32 v3, v3, v5
	s_waitcnt vmcnt(1)
	v_pk_add_f32 v[6:7], v[6:7], v[10:11] neg_lo:[0,1] neg_hi:[0,1]
	s_waitcnt vmcnt(0)
	v_pk_add_f32 v[72:73], v[72:73], v[10:11] neg_lo:[0,1] neg_hi:[0,1]
	v_pk_mul_f32 v[6:7], v[6:7], v[6:7]
	v_pk_mul_f32 v[72:73], v[72:73], v[72:73]
	v_fma_f32 v3, v3, v3, v6
	v_add_f32_e32 v3, v3, v7
	v_cmp_gt_f32_e32 vcc, s39, v3
	v_mul_f32_e32 v4, 0x4f800000, v3
	s_nop 0
	v_cndmask_b32_e32 v3, v3, v4, vcc
	v_sqrt_f32_e32 v4, v3
	s_nop 0
	v_add_u32_e32 v6, -1, v4
	v_fma_f32 v7, -v6, v4, v3
	v_cmp_ge_f32_e64 s[0:1], 0, v7
	v_add_u32_e32 v7, 1, v4
	s_nop 0
	v_cndmask_b32_e64 v6, v4, v6, s[0:1]
	v_fma_f32 v4, -v7, v4, v3
	v_cmp_lt_f32_e64 s[0:1], 0, v4
	s_nop 1
	v_cndmask_b32_e64 v4, v6, v7, s[0:1]
	v_mul_f32_e32 v6, 0x37800000, v4
	v_cndmask_b32_e32 v4, v4, v6, vcc
	v_cmp_class_f32_e32 vcc, v3, v9
	s_nop 1
	v_cndmask_b32_e32 v6, v4, v3, vcc
	scratch_load_dword v3, off, off offset:3556 ; 4-byte Folded Reload
	s_waitcnt vmcnt(0)
	v_sub_f32_e32 v3, v3, v5
	v_fma_f32 v3, v3, v3, v72
	v_add_f32_e32 v3, v3, v73
	v_cmp_gt_f32_e32 vcc, s39, v3
	v_mul_f32_e32 v4, 0x4f800000, v3
	s_nop 0
	v_cndmask_b32_e32 v3, v3, v4, vcc
	v_sqrt_f32_e32 v4, v3
	s_nop 0
	v_add_u32_e32 v7, -1, v4
	v_fma_f32 v72, -v7, v4, v3
	v_cmp_ge_f32_e64 s[0:1], 0, v72
	v_add_u32_e32 v72, 1, v4
	s_nop 0
	v_cndmask_b32_e64 v7, v4, v7, s[0:1]
	v_fma_f32 v4, -v72, v4, v3
	v_cmp_lt_f32_e64 s[0:1], 0, v4
	s_nop 1
	v_cndmask_b32_e64 v4, v7, v72, s[0:1]
	v_mul_f32_e32 v7, 0x37800000, v4
	v_cndmask_b32_e32 v4, v4, v7, vcc
	v_cmp_class_f32_e32 vcc, v3, v9
	s_nop 1
	v_cndmask_b32_e32 v7, v4, v3, vcc
	v_pk_add_f32 v[72:73], v[6:7], v[8:9] op_sel_hi:[1,0] neg_lo:[0,1] neg_hi:[0,1]
	v_pk_fma_f32 v[6:7], v[62:63], v[6:7], 1.0 op_sel_hi:[0,1,0] neg_lo:[1,0,0] neg_hi:[1,0,0]
	v_cmp_gt_f32_e32 vcc, 0, v72
	v_cmp_gt_f32_e64 s[0:1], 0, v73
	v_cmp_lt_f32_e64 s[12:13], v72, v1
	v_cndmask_b32_e32 v74, 0, v61, vcc
	v_cndmask_b32_e64 v75, 0, v61, s[0:1]
	v_pk_fma_f32 v[6:7], v[6:7], v[74:75], v[116:117]
	v_pk_fma_f32 v[74:75], v[0:1], v[72:73], 1.0 op_sel_hi:[0,1,0] neg_lo:[1,0,0] neg_hi:[1,0,0]
	v_cmp_lt_f32_e64 s[16:17], v73, v1
	v_cndmask_b32_e64 v75, v75, 1.0, s[0:1]
	v_cndmask_b32_e64 v74, v74, 1.0, vcc
	v_cndmask_b32_e64 v117, 0, 1.0, s[16:17]
	v_cndmask_b32_e64 v116, 0, 1.0, s[12:13]
	v_pk_mul_f32 v[74:75], v[116:117], v[74:75]
	v_cmp_lt_f32_e64 s[12:13], v73, v70
	v_pk_mul_f32 v[74:75], v[60:61], v[74:75] op_sel_hi:[0,1]
	v_cmp_lt_f32_e64 s[16:17], v72, v70
	v_cndmask_b32_e64 v75, v75, -|v75|, s[34:35]
	v_cndmask_b32_e64 v74, v74, -|v74|, s[34:35]
	s_and_b64 s[16:17], s[10:11], s[16:17]
	s_and_b64 s[12:13], s[10:11], s[12:13]
	v_pk_fma_f32 v[6:7], v[74:75], s[28:29], v[6:7] op_sel_hi:[1,0,1]
	v_pk_fma_f32 v[74:75], v[2:3], v[72:73], 1.0 op_sel_hi:[0,1,0] neg_lo:[1,0,0] neg_hi:[1,0,0]
	v_cndmask_b32_e64 v73, 0, 1.0, s[12:13]
	v_cndmask_b32_e64 v72, 0, 1.0, s[16:17]
	v_pk_mul_f32 v[72:73], v[12:13], v[72:73] op_sel_hi:[0,1]
	v_cndmask_b32_e64 v75, v75, 1.0, s[0:1]
	v_cndmask_b32_e64 v74, v74, 1.0, vcc
	v_pk_fma_f32 v[116:117], v[74:75], v[72:73], v[6:7]
	scratch_load_dword v3, off, off offset:3568 ; 4-byte Folded Reload
	scratch_load_dwordx2 v[6:7], off, off offset:3572 ; 8-byte Folded Reload
	scratch_load_dwordx2 v[72:73], off, off offset:3584 ; 8-byte Folded Reload
	s_waitcnt vmcnt(2)
	v_sub_f32_e32 v3, v3, v5
	s_waitcnt vmcnt(1)
	v_pk_add_f32 v[6:7], v[6:7], v[10:11] neg_lo:[0,1] neg_hi:[0,1]
	s_waitcnt vmcnt(0)
	v_pk_add_f32 v[72:73], v[72:73], v[10:11] neg_lo:[0,1] neg_hi:[0,1]
	v_pk_mul_f32 v[6:7], v[6:7], v[6:7]
	v_pk_mul_f32 v[72:73], v[72:73], v[72:73]
	v_fma_f32 v3, v3, v3, v6
	v_add_f32_e32 v3, v3, v7
	v_cmp_gt_f32_e32 vcc, s39, v3
	v_mul_f32_e32 v4, 0x4f800000, v3
	s_nop 0
	v_cndmask_b32_e32 v3, v3, v4, vcc
	v_sqrt_f32_e32 v4, v3
	s_nop 0
	v_add_u32_e32 v6, -1, v4
	v_fma_f32 v7, -v6, v4, v3
	v_cmp_ge_f32_e64 s[0:1], 0, v7
	v_add_u32_e32 v7, 1, v4
	s_nop 0
	v_cndmask_b32_e64 v6, v4, v6, s[0:1]
	v_fma_f32 v4, -v7, v4, v3
	v_cmp_lt_f32_e64 s[0:1], 0, v4
	s_nop 1
	v_cndmask_b32_e64 v4, v6, v7, s[0:1]
	v_mul_f32_e32 v6, 0x37800000, v4
	v_cndmask_b32_e32 v4, v4, v6, vcc
	v_cmp_class_f32_e32 vcc, v3, v9
	s_nop 1
	v_cndmask_b32_e32 v6, v4, v3, vcc
	scratch_load_dword v3, off, off offset:3580 ; 4-byte Folded Reload
	s_waitcnt vmcnt(0)
	v_sub_f32_e32 v3, v3, v5
	v_fma_f32 v3, v3, v3, v72
	v_add_f32_e32 v3, v3, v73
	v_cmp_gt_f32_e32 vcc, s39, v3
	v_mul_f32_e32 v4, 0x4f800000, v3
	s_nop 0
	v_cndmask_b32_e32 v3, v3, v4, vcc
	v_sqrt_f32_e32 v4, v3
	s_nop 0
	v_add_u32_e32 v7, -1, v4
	v_fma_f32 v72, -v7, v4, v3
	v_cmp_ge_f32_e64 s[0:1], 0, v72
	v_add_u32_e32 v72, 1, v4
	s_nop 0
	v_cndmask_b32_e64 v7, v4, v7, s[0:1]
	v_fma_f32 v4, -v72, v4, v3
	v_cmp_lt_f32_e64 s[0:1], 0, v4
	s_nop 1
	v_cndmask_b32_e64 v4, v7, v72, s[0:1]
	v_mul_f32_e32 v7, 0x37800000, v4
	v_cndmask_b32_e32 v4, v4, v7, vcc
	v_cmp_class_f32_e32 vcc, v3, v9
	s_nop 1
	v_cndmask_b32_e32 v7, v4, v3, vcc
	v_pk_add_f32 v[72:73], v[6:7], v[8:9] op_sel_hi:[1,0] neg_lo:[0,1] neg_hi:[0,1]
	v_pk_fma_f32 v[6:7], v[62:63], v[6:7], 1.0 op_sel_hi:[0,1,0] neg_lo:[1,0,0] neg_hi:[1,0,0]
	v_cmp_gt_f32_e32 vcc, 0, v72
	v_cmp_gt_f32_e64 s[0:1], 0, v73
	v_cmp_lt_f32_e64 s[12:13], v72, v1
	v_cndmask_b32_e32 v74, 0, v61, vcc
	v_cndmask_b32_e64 v75, 0, v61, s[0:1]
	v_pk_fma_f32 v[6:7], v[6:7], v[74:75], v[110:111]
	v_pk_fma_f32 v[74:75], v[0:1], v[72:73], 1.0 op_sel_hi:[0,1,0] neg_lo:[1,0,0] neg_hi:[1,0,0]
	v_cmp_lt_f32_e64 s[16:17], v73, v1
	v_cndmask_b32_e64 v75, v75, 1.0, s[0:1]
	v_cndmask_b32_e64 v74, v74, 1.0, vcc
	v_cndmask_b32_e64 v111, 0, 1.0, s[16:17]
	v_cndmask_b32_e64 v110, 0, 1.0, s[12:13]
	v_pk_mul_f32 v[74:75], v[110:111], v[74:75]
	v_cmp_lt_f32_e64 s[12:13], v73, v70
	v_pk_mul_f32 v[74:75], v[60:61], v[74:75] op_sel_hi:[0,1]
	v_cmp_lt_f32_e64 s[16:17], v72, v70
	v_cndmask_b32_e64 v75, v75, -|v75|, s[34:35]
	v_cndmask_b32_e64 v74, v74, -|v74|, s[34:35]
	s_and_b64 s[16:17], s[10:11], s[16:17]
	s_and_b64 s[12:13], s[10:11], s[12:13]
	v_pk_fma_f32 v[6:7], v[74:75], s[28:29], v[6:7] op_sel_hi:[1,0,1]
	v_pk_fma_f32 v[74:75], v[2:3], v[72:73], 1.0 op_sel_hi:[0,1,0] neg_lo:[1,0,0] neg_hi:[1,0,0]
	v_cndmask_b32_e64 v73, 0, 1.0, s[12:13]
	v_cndmask_b32_e64 v72, 0, 1.0, s[16:17]
	v_pk_mul_f32 v[72:73], v[12:13], v[72:73] op_sel_hi:[0,1]
	v_cndmask_b32_e64 v75, v75, 1.0, s[0:1]
	v_cndmask_b32_e64 v74, v74, 1.0, vcc
	v_pk_fma_f32 v[110:111], v[74:75], v[72:73], v[6:7]
	scratch_load_dword v3, off, off offset:3592 ; 4-byte Folded Reload
	scratch_load_dwordx2 v[6:7], off, off offset:3596 ; 8-byte Folded Reload
	scratch_load_dwordx2 v[72:73], off, off offset:3608 ; 8-byte Folded Reload
	s_waitcnt vmcnt(2)
	v_sub_f32_e32 v3, v3, v5
	s_waitcnt vmcnt(1)
	v_pk_add_f32 v[6:7], v[6:7], v[10:11] neg_lo:[0,1] neg_hi:[0,1]
	s_waitcnt vmcnt(0)
	v_pk_add_f32 v[72:73], v[72:73], v[10:11] neg_lo:[0,1] neg_hi:[0,1]
	v_pk_mul_f32 v[6:7], v[6:7], v[6:7]
	v_pk_mul_f32 v[72:73], v[72:73], v[72:73]
	v_fma_f32 v3, v3, v3, v6
	v_add_f32_e32 v3, v3, v7
	v_cmp_gt_f32_e32 vcc, s39, v3
	v_mul_f32_e32 v4, 0x4f800000, v3
	s_nop 0
	v_cndmask_b32_e32 v3, v3, v4, vcc
	v_sqrt_f32_e32 v4, v3
	s_nop 0
	v_add_u32_e32 v6, -1, v4
	v_fma_f32 v7, -v6, v4, v3
	v_cmp_ge_f32_e64 s[0:1], 0, v7
	v_add_u32_e32 v7, 1, v4
	s_nop 0
	v_cndmask_b32_e64 v6, v4, v6, s[0:1]
	v_fma_f32 v4, -v7, v4, v3
	v_cmp_lt_f32_e64 s[0:1], 0, v4
	s_nop 1
	v_cndmask_b32_e64 v4, v6, v7, s[0:1]
	v_mul_f32_e32 v6, 0x37800000, v4
	v_cndmask_b32_e32 v4, v4, v6, vcc
	v_cmp_class_f32_e32 vcc, v3, v9
	s_nop 1
	v_cndmask_b32_e32 v6, v4, v3, vcc
	scratch_load_dword v3, off, off offset:3604 ; 4-byte Folded Reload
	s_waitcnt vmcnt(0)
	v_sub_f32_e32 v3, v3, v5
	v_fma_f32 v3, v3, v3, v72
	v_add_f32_e32 v3, v3, v73
	v_cmp_gt_f32_e32 vcc, s39, v3
	v_mul_f32_e32 v4, 0x4f800000, v3
	s_nop 0
	v_cndmask_b32_e32 v3, v3, v4, vcc
	v_sqrt_f32_e32 v4, v3
	s_nop 0
	v_add_u32_e32 v7, -1, v4
	v_fma_f32 v72, -v7, v4, v3
	v_cmp_ge_f32_e64 s[0:1], 0, v72
	v_add_u32_e32 v72, 1, v4
	s_nop 0
	v_cndmask_b32_e64 v7, v4, v7, s[0:1]
	v_fma_f32 v4, -v72, v4, v3
	v_cmp_lt_f32_e64 s[0:1], 0, v4
	s_nop 1
	v_cndmask_b32_e64 v4, v7, v72, s[0:1]
	v_mul_f32_e32 v7, 0x37800000, v4
	v_cndmask_b32_e32 v4, v4, v7, vcc
	v_cmp_class_f32_e32 vcc, v3, v9
	s_nop 1
	v_cndmask_b32_e32 v7, v4, v3, vcc
	v_pk_add_f32 v[72:73], v[6:7], v[8:9] op_sel_hi:[1,0] neg_lo:[0,1] neg_hi:[0,1]
	v_pk_fma_f32 v[6:7], v[62:63], v[6:7], 1.0 op_sel_hi:[0,1,0] neg_lo:[1,0,0] neg_hi:[1,0,0]
	v_cmp_gt_f32_e32 vcc, 0, v72
	v_cmp_gt_f32_e64 s[0:1], 0, v73
	v_cmp_lt_f32_e64 s[12:13], v72, v1
	v_cndmask_b32_e32 v74, 0, v61, vcc
	v_cndmask_b32_e64 v75, 0, v61, s[0:1]
	v_pk_fma_f32 v[6:7], v[6:7], v[74:75], v[112:113]
	v_pk_fma_f32 v[74:75], v[0:1], v[72:73], 1.0 op_sel_hi:[0,1,0] neg_lo:[1,0,0] neg_hi:[1,0,0]
	v_cmp_lt_f32_e64 s[16:17], v73, v1
	v_cndmask_b32_e64 v75, v75, 1.0, s[0:1]
	v_cndmask_b32_e64 v74, v74, 1.0, vcc
	v_cndmask_b32_e64 v113, 0, 1.0, s[16:17]
	v_cndmask_b32_e64 v112, 0, 1.0, s[12:13]
	v_pk_mul_f32 v[74:75], v[112:113], v[74:75]
	v_cmp_lt_f32_e64 s[12:13], v73, v70
	v_pk_mul_f32 v[74:75], v[60:61], v[74:75] op_sel_hi:[0,1]
	v_cmp_lt_f32_e64 s[16:17], v72, v70
	v_cndmask_b32_e64 v75, v75, -|v75|, s[34:35]
	v_cndmask_b32_e64 v74, v74, -|v74|, s[34:35]
	s_and_b64 s[16:17], s[10:11], s[16:17]
	s_and_b64 s[12:13], s[10:11], s[12:13]
	v_pk_fma_f32 v[6:7], v[74:75], s[28:29], v[6:7] op_sel_hi:[1,0,1]
	v_pk_fma_f32 v[74:75], v[2:3], v[72:73], 1.0 op_sel_hi:[0,1,0] neg_lo:[1,0,0] neg_hi:[1,0,0]
	v_cndmask_b32_e64 v73, 0, 1.0, s[12:13]
	v_cndmask_b32_e64 v72, 0, 1.0, s[16:17]
	v_pk_mul_f32 v[72:73], v[12:13], v[72:73] op_sel_hi:[0,1]
	v_cndmask_b32_e64 v75, v75, 1.0, s[0:1]
	v_cndmask_b32_e64 v74, v74, 1.0, vcc
	v_pk_fma_f32 v[112:113], v[74:75], v[72:73], v[6:7]
	scratch_load_dword v3, off, off offset:3616 ; 4-byte Folded Reload
	scratch_load_dwordx2 v[6:7], off, off offset:3620 ; 8-byte Folded Reload
	scratch_load_dwordx2 v[72:73], off, off offset:3632 ; 8-byte Folded Reload
	s_waitcnt vmcnt(2)
	v_sub_f32_e32 v3, v3, v5
	s_waitcnt vmcnt(1)
	v_pk_add_f32 v[6:7], v[6:7], v[10:11] neg_lo:[0,1] neg_hi:[0,1]
	s_waitcnt vmcnt(0)
	v_pk_add_f32 v[72:73], v[72:73], v[10:11] neg_lo:[0,1] neg_hi:[0,1]
	v_pk_mul_f32 v[6:7], v[6:7], v[6:7]
	v_pk_mul_f32 v[72:73], v[72:73], v[72:73]
	v_fma_f32 v3, v3, v3, v6
	v_add_f32_e32 v3, v3, v7
	v_cmp_gt_f32_e32 vcc, s39, v3
	v_mul_f32_e32 v4, 0x4f800000, v3
	s_nop 0
	v_cndmask_b32_e32 v3, v3, v4, vcc
	v_sqrt_f32_e32 v4, v3
	s_nop 0
	v_add_u32_e32 v6, -1, v4
	v_fma_f32 v7, -v6, v4, v3
	v_cmp_ge_f32_e64 s[0:1], 0, v7
	v_add_u32_e32 v7, 1, v4
	s_nop 0
	v_cndmask_b32_e64 v6, v4, v6, s[0:1]
	v_fma_f32 v4, -v7, v4, v3
	v_cmp_lt_f32_e64 s[0:1], 0, v4
	s_nop 1
	v_cndmask_b32_e64 v4, v6, v7, s[0:1]
	v_mul_f32_e32 v6, 0x37800000, v4
	v_cndmask_b32_e32 v4, v4, v6, vcc
	v_cmp_class_f32_e32 vcc, v3, v9
	s_nop 1
	v_cndmask_b32_e32 v6, v4, v3, vcc
	scratch_load_dword v3, off, off offset:3628 ; 4-byte Folded Reload
	s_waitcnt vmcnt(0)
	v_sub_f32_e32 v3, v3, v5
	v_fma_f32 v3, v3, v3, v72
	v_add_f32_e32 v3, v3, v73
	v_cmp_gt_f32_e32 vcc, s39, v3
	v_mul_f32_e32 v4, 0x4f800000, v3
	s_nop 0
	v_cndmask_b32_e32 v3, v3, v4, vcc
	v_sqrt_f32_e32 v4, v3
	s_nop 0
	v_add_u32_e32 v7, -1, v4
	v_fma_f32 v72, -v7, v4, v3
	v_cmp_ge_f32_e64 s[0:1], 0, v72
	v_add_u32_e32 v72, 1, v4
	s_nop 0
	v_cndmask_b32_e64 v7, v4, v7, s[0:1]
	v_fma_f32 v4, -v72, v4, v3
	v_cmp_lt_f32_e64 s[0:1], 0, v4
	s_nop 1
	v_cndmask_b32_e64 v4, v7, v72, s[0:1]
	v_mul_f32_e32 v7, 0x37800000, v4
	v_cndmask_b32_e32 v4, v4, v7, vcc
	v_cmp_class_f32_e32 vcc, v3, v9
	s_nop 1
	v_cndmask_b32_e32 v7, v4, v3, vcc
	v_pk_add_f32 v[72:73], v[6:7], v[8:9] op_sel_hi:[1,0] neg_lo:[0,1] neg_hi:[0,1]
	v_pk_fma_f32 v[6:7], v[62:63], v[6:7], 1.0 op_sel_hi:[0,1,0] neg_lo:[1,0,0] neg_hi:[1,0,0]
	v_cmp_gt_f32_e32 vcc, 0, v72
	v_cmp_gt_f32_e64 s[0:1], 0, v73
	v_cmp_lt_f32_e64 s[12:13], v72, v1
	v_cndmask_b32_e32 v74, 0, v61, vcc
	v_cndmask_b32_e64 v75, 0, v61, s[0:1]
	v_pk_fma_f32 v[6:7], v[6:7], v[74:75], v[96:97]
	v_pk_fma_f32 v[74:75], v[0:1], v[72:73], 1.0 op_sel_hi:[0,1,0] neg_lo:[1,0,0] neg_hi:[1,0,0]
	v_cmp_lt_f32_e64 s[16:17], v73, v1
	v_cndmask_b32_e64 v75, v75, 1.0, s[0:1]
	v_cndmask_b32_e64 v74, v74, 1.0, vcc
	v_cndmask_b32_e64 v97, 0, 1.0, s[16:17]
	v_cndmask_b32_e64 v96, 0, 1.0, s[12:13]
	v_pk_mul_f32 v[74:75], v[96:97], v[74:75]
	v_cmp_lt_f32_e64 s[12:13], v73, v70
	v_pk_mul_f32 v[74:75], v[60:61], v[74:75] op_sel_hi:[0,1]
	v_cmp_lt_f32_e64 s[16:17], v72, v70
	v_cndmask_b32_e64 v75, v75, -|v75|, s[34:35]
	v_cndmask_b32_e64 v74, v74, -|v74|, s[34:35]
	s_and_b64 s[16:17], s[10:11], s[16:17]
	s_and_b64 s[12:13], s[10:11], s[12:13]
	v_pk_fma_f32 v[6:7], v[74:75], s[28:29], v[6:7] op_sel_hi:[1,0,1]
	v_pk_fma_f32 v[74:75], v[2:3], v[72:73], 1.0 op_sel_hi:[0,1,0] neg_lo:[1,0,0] neg_hi:[1,0,0]
	v_cndmask_b32_e64 v73, 0, 1.0, s[12:13]
	v_cndmask_b32_e64 v72, 0, 1.0, s[16:17]
	v_pk_mul_f32 v[72:73], v[12:13], v[72:73] op_sel_hi:[0,1]
	v_cndmask_b32_e64 v75, v75, 1.0, s[0:1]
	v_cndmask_b32_e64 v74, v74, 1.0, vcc
	v_pk_fma_f32 v[96:97], v[74:75], v[72:73], v[6:7]
	scratch_load_dword v3, off, off offset:3640 ; 4-byte Folded Reload
	scratch_load_dwordx2 v[6:7], off, off offset:3644 ; 8-byte Folded Reload
	scratch_load_dwordx2 v[72:73], off, off offset:3652 ; 8-byte Folded Reload
	s_waitcnt vmcnt(2)
	v_sub_f32_e32 v3, v3, v5
	s_waitcnt vmcnt(1)
	v_pk_add_f32 v[6:7], v[6:7], v[10:11] neg_lo:[0,1] neg_hi:[0,1]
	s_waitcnt vmcnt(0)
	v_pk_add_f32 v[72:73], v[72:73], v[10:11] neg_lo:[0,1] neg_hi:[0,1]
	v_pk_mul_f32 v[6:7], v[6:7], v[6:7]
	v_pk_mul_f32 v[72:73], v[72:73], v[72:73]
	v_fma_f32 v3, v3, v3, v6
	v_add_f32_e32 v3, v3, v7
	v_cmp_gt_f32_e32 vcc, s39, v3
	v_mul_f32_e32 v4, 0x4f800000, v3
	s_nop 0
	v_cndmask_b32_e32 v3, v3, v4, vcc
	v_sqrt_f32_e32 v4, v3
	s_nop 0
	v_add_u32_e32 v6, -1, v4
	v_fma_f32 v7, -v6, v4, v3
	v_cmp_ge_f32_e64 s[0:1], 0, v7
	v_add_u32_e32 v7, 1, v4
	s_nop 0
	v_cndmask_b32_e64 v6, v4, v6, s[0:1]
	v_fma_f32 v4, -v7, v4, v3
	v_cmp_lt_f32_e64 s[0:1], 0, v4
	s_nop 1
	v_cndmask_b32_e64 v4, v6, v7, s[0:1]
	v_mul_f32_e32 v6, 0x37800000, v4
	v_cndmask_b32_e32 v4, v4, v6, vcc
	v_cmp_class_f32_e32 vcc, v3, v9
	s_nop 1
	v_cndmask_b32_e32 v6, v4, v3, vcc
	v_sub_f32_e32 v3, v76, v5
	v_fma_f32 v3, v3, v3, v72
	v_add_f32_e32 v3, v3, v73
	v_cmp_gt_f32_e32 vcc, s39, v3
	v_mul_f32_e32 v4, 0x4f800000, v3
	s_nop 0
	v_cndmask_b32_e32 v3, v3, v4, vcc
	v_sqrt_f32_e32 v4, v3
	s_nop 0
	v_add_u32_e32 v7, -1, v4
	v_fma_f32 v72, -v7, v4, v3
	v_cmp_ge_f32_e64 s[0:1], 0, v72
	v_add_u32_e32 v72, 1, v4
	s_nop 0
	v_cndmask_b32_e64 v7, v4, v7, s[0:1]
	v_fma_f32 v4, -v72, v4, v3
	v_cmp_lt_f32_e64 s[0:1], 0, v4
	s_nop 1
	v_cndmask_b32_e64 v4, v7, v72, s[0:1]
	v_mul_f32_e32 v7, 0x37800000, v4
	v_cndmask_b32_e32 v4, v4, v7, vcc
	v_cmp_class_f32_e32 vcc, v3, v9
	s_nop 1
	v_cndmask_b32_e32 v7, v4, v3, vcc
	v_pk_add_f32 v[72:73], v[6:7], v[8:9] op_sel_hi:[1,0] neg_lo:[0,1] neg_hi:[0,1]
	v_pk_fma_f32 v[6:7], v[62:63], v[6:7], 1.0 op_sel_hi:[0,1,0] neg_lo:[1,0,0] neg_hi:[1,0,0]
	v_cmp_gt_f32_e32 vcc, 0, v72
	v_cmp_gt_f32_e64 s[0:1], 0, v73
	v_cmp_lt_f32_e64 s[12:13], v72, v1
	v_cndmask_b32_e32 v74, 0, v61, vcc
	v_cndmask_b32_e64 v75, 0, v61, s[0:1]
	v_pk_fma_f32 v[6:7], v[6:7], v[74:75], v[98:99]
	v_pk_fma_f32 v[74:75], v[0:1], v[72:73], 1.0 op_sel_hi:[0,1,0] neg_lo:[1,0,0] neg_hi:[1,0,0]
	v_cmp_lt_f32_e64 s[16:17], v73, v1
	v_cndmask_b32_e64 v75, v75, 1.0, s[0:1]
	v_cndmask_b32_e64 v74, v74, 1.0, vcc
	v_cndmask_b32_e64 v99, 0, 1.0, s[16:17]
	v_cndmask_b32_e64 v98, 0, 1.0, s[12:13]
	v_pk_mul_f32 v[74:75], v[98:99], v[74:75]
	v_cmp_lt_f32_e64 s[12:13], v73, v70
	v_pk_mul_f32 v[74:75], v[60:61], v[74:75] op_sel_hi:[0,1]
	v_cmp_lt_f32_e64 s[16:17], v72, v70
	v_cndmask_b32_e64 v75, v75, -|v75|, s[34:35]
	v_cndmask_b32_e64 v74, v74, -|v74|, s[34:35]
	s_and_b64 s[16:17], s[10:11], s[16:17]
	s_and_b64 s[12:13], s[10:11], s[12:13]
	v_pk_fma_f32 v[6:7], v[74:75], s[28:29], v[6:7] op_sel_hi:[1,0,1]
	v_pk_fma_f32 v[74:75], v[2:3], v[72:73], 1.0 op_sel_hi:[0,1,0] neg_lo:[1,0,0] neg_hi:[1,0,0]
	v_cndmask_b32_e64 v73, 0, 1.0, s[12:13]
	v_cndmask_b32_e64 v72, 0, 1.0, s[16:17]
	v_pk_mul_f32 v[72:73], v[12:13], v[72:73] op_sel_hi:[0,1]
	v_cndmask_b32_e64 v75, v75, 1.0, s[0:1]
	v_cndmask_b32_e64 v74, v74, 1.0, vcc
	v_pk_fma_f32 v[98:99], v[74:75], v[72:73], v[6:7]
	scratch_load_dwordx2 v[6:7], off, off offset:3660 ; 8-byte Folded Reload
	scratch_load_dwordx2 v[72:73], off, off offset:3668 ; 8-byte Folded Reload
	v_sub_f32_e32 v3, v77, v5
	s_waitcnt vmcnt(1)
	v_pk_add_f32 v[6:7], v[6:7], v[10:11] neg_lo:[0,1] neg_hi:[0,1]
	s_nop 0
	v_pk_mul_f32 v[6:7], v[6:7], v[6:7]
	s_waitcnt vmcnt(0)
	v_pk_add_f32 v[72:73], v[72:73], v[10:11] neg_lo:[0,1] neg_hi:[0,1]
	v_fma_f32 v3, v3, v3, v6
	v_add_f32_e32 v3, v3, v7
	v_cmp_gt_f32_e32 vcc, s39, v3
	v_mul_f32_e32 v4, 0x4f800000, v3
	v_pk_mul_f32 v[72:73], v[72:73], v[72:73]
	v_cndmask_b32_e32 v3, v3, v4, vcc
	v_sqrt_f32_e32 v4, v3
	s_nop 0
	v_add_u32_e32 v6, -1, v4
	v_fma_f32 v7, -v6, v4, v3
	v_cmp_ge_f32_e64 s[0:1], 0, v7
	v_add_u32_e32 v7, 1, v4
	s_nop 0
	v_cndmask_b32_e64 v6, v4, v6, s[0:1]
	v_fma_f32 v4, -v7, v4, v3
	v_cmp_lt_f32_e64 s[0:1], 0, v4
	s_nop 1
	v_cndmask_b32_e64 v4, v6, v7, s[0:1]
	v_mul_f32_e32 v6, 0x37800000, v4
	v_cndmask_b32_e32 v4, v4, v6, vcc
	v_cmp_class_f32_e32 vcc, v3, v9
	s_nop 1
	v_cndmask_b32_e32 v6, v4, v3, vcc
	v_sub_f32_e32 v3, v78, v5
	v_fma_f32 v3, v3, v3, v72
	v_add_f32_e32 v3, v3, v73
	v_cmp_gt_f32_e32 vcc, s39, v3
	v_mul_f32_e32 v4, 0x4f800000, v3
	s_nop 0
	v_cndmask_b32_e32 v3, v3, v4, vcc
	v_sqrt_f32_e32 v4, v3
	s_nop 0
	v_add_u32_e32 v7, -1, v4
	v_fma_f32 v72, -v7, v4, v3
	v_cmp_ge_f32_e64 s[0:1], 0, v72
	v_add_u32_e32 v72, 1, v4
	s_nop 0
	v_cndmask_b32_e64 v7, v4, v7, s[0:1]
	v_fma_f32 v4, -v72, v4, v3
	v_cmp_lt_f32_e64 s[0:1], 0, v4
	s_nop 1
	v_cndmask_b32_e64 v4, v7, v72, s[0:1]
	v_mul_f32_e32 v7, 0x37800000, v4
	v_cndmask_b32_e32 v4, v4, v7, vcc
	v_cmp_class_f32_e32 vcc, v3, v9
	s_nop 1
	v_cndmask_b32_e32 v7, v4, v3, vcc
	v_pk_add_f32 v[72:73], v[6:7], v[8:9] op_sel_hi:[1,0] neg_lo:[0,1] neg_hi:[0,1]
	v_pk_fma_f32 v[6:7], v[62:63], v[6:7], 1.0 op_sel_hi:[0,1,0] neg_lo:[1,0,0] neg_hi:[1,0,0]
	v_cmp_gt_f32_e32 vcc, 0, v72
	v_cmp_gt_f32_e64 s[0:1], 0, v73
	v_cmp_lt_f32_e64 s[12:13], v72, v1
	v_cndmask_b32_e32 v74, 0, v61, vcc
	v_cndmask_b32_e64 v75, 0, v61, s[0:1]
	v_pk_fma_f32 v[6:7], v[6:7], v[74:75], v[46:47]
	v_pk_fma_f32 v[46:47], v[0:1], v[72:73], 1.0 op_sel_hi:[0,1,0] neg_lo:[1,0,0] neg_hi:[1,0,0]
	v_cmp_lt_f32_e64 s[16:17], v73, v1
	v_cndmask_b32_e64 v47, v47, 1.0, s[0:1]
	v_cndmask_b32_e64 v46, v46, 1.0, vcc
	v_cndmask_b32_e64 v75, 0, 1.0, s[16:17]
	v_cndmask_b32_e64 v74, 0, 1.0, s[12:13]
	v_pk_mul_f32 v[46:47], v[74:75], v[46:47]
	v_cmp_lt_f32_e64 s[12:13], v73, v70
	v_pk_mul_f32 v[46:47], v[60:61], v[46:47] op_sel_hi:[0,1]
	v_cmp_lt_f32_e64 s[16:17], v72, v70
	v_cndmask_b32_e64 v47, v47, -|v47|, s[34:35]
	v_cndmask_b32_e64 v46, v46, -|v46|, s[34:35]
	s_and_b64 s[16:17], s[10:11], s[16:17]
	s_and_b64 s[12:13], s[10:11], s[12:13]
	v_pk_fma_f32 v[6:7], v[46:47], s[28:29], v[6:7] op_sel_hi:[1,0,1]
	v_pk_fma_f32 v[46:47], v[2:3], v[72:73], 1.0 op_sel_hi:[0,1,0] neg_lo:[1,0,0] neg_hi:[1,0,0]
	v_cndmask_b32_e64 v73, 0, 1.0, s[12:13]
	v_cndmask_b32_e64 v72, 0, 1.0, s[16:17]
	v_pk_mul_f32 v[72:73], v[12:13], v[72:73] op_sel_hi:[0,1]
	v_cndmask_b32_e64 v47, v47, 1.0, s[0:1]
	v_cndmask_b32_e64 v46, v46, 1.0, vcc
	v_pk_fma_f32 v[46:47], v[46:47], v[72:73], v[6:7]
	scratch_load_dwordx2 v[6:7], off, off offset:3676 ; 8-byte Folded Reload
	v_sub_f32_e32 v3, v79, v5
	s_waitcnt vmcnt(0)
	v_pk_add_f32 v[6:7], v[6:7], v[10:11] neg_lo:[0,1] neg_hi:[0,1]
	s_nop 0
	v_pk_mul_f32 v[6:7], v[6:7], v[6:7]
	s_nop 0
	v_fma_f32 v3, v3, v3, v6
	v_add_f32_e32 v3, v3, v7
	v_cmp_gt_f32_e32 vcc, s39, v3
	v_mul_f32_e32 v4, 0x4f800000, v3
	s_nop 0
	v_cndmask_b32_e32 v3, v3, v4, vcc
	v_sqrt_f32_e32 v4, v3
	s_nop 0
	v_add_u32_e32 v6, -1, v4
	v_fma_f32 v7, -v6, v4, v3
	v_cmp_ge_f32_e64 s[0:1], 0, v7
	v_add_u32_e32 v7, 1, v4
	s_nop 0
	v_cndmask_b32_e64 v6, v4, v6, s[0:1]
	v_fma_f32 v4, -v7, v4, v3
	v_cmp_lt_f32_e64 s[0:1], 0, v4
	s_nop 1
	v_cndmask_b32_e64 v4, v6, v7, s[0:1]
	v_mul_f32_e32 v6, 0x37800000, v4
	v_cndmask_b32_e32 v4, v4, v6, vcc
	v_cmp_class_f32_e32 vcc, v3, v9
	s_nop 1
	v_cndmask_b32_e32 v6, v4, v3, vcc
	v_sub_f32_e32 v3, v104, v5
	scratch_load_dwordx2 v[4:5], off, off offset:3684 ; 8-byte Folded Reload
	s_waitcnt vmcnt(0)
	v_pk_add_f32 v[4:5], v[4:5], v[10:11] neg_lo:[0,1] neg_hi:[0,1]
	s_nop 0
	v_pk_mul_f32 v[4:5], v[4:5], v[4:5]
	s_nop 0
	v_fma_f32 v3, v3, v3, v4
	v_add_f32_e32 v3, v3, v5
	v_cmp_gt_f32_e32 vcc, s39, v3
	v_mul_f32_e32 v4, 0x4f800000, v3
	s_nop 0
	v_cndmask_b32_e32 v3, v3, v4, vcc
	v_sqrt_f32_e32 v4, v3
	s_nop 0
	v_add_u32_e32 v5, -1, v4
	v_fma_f32 v7, -v5, v4, v3
	v_cmp_ge_f32_e64 s[0:1], 0, v7
	v_add_u32_e32 v7, 1, v4
	s_nop 0
	v_cndmask_b32_e64 v5, v4, v5, s[0:1]
	v_fma_f32 v4, -v7, v4, v3
	v_cmp_lt_f32_e64 s[0:1], 0, v4
	s_nop 1
	v_cndmask_b32_e64 v4, v5, v7, s[0:1]
	v_mul_f32_e32 v5, 0x37800000, v4
	v_cndmask_b32_e32 v4, v4, v5, vcc
	v_cmp_class_f32_e32 vcc, v3, v9
	s_nop 1
	v_cndmask_b32_e32 v7, v4, v3, vcc
	v_pk_add_f32 v[4:5], v[6:7], v[8:9] op_sel_hi:[1,0] neg_lo:[0,1] neg_hi:[0,1]
	v_pk_fma_f32 v[6:7], v[62:63], v[6:7], 1.0 op_sel_hi:[0,1,0] neg_lo:[1,0,0] neg_hi:[1,0,0]
	v_cmp_gt_f32_e32 vcc, 0, v4
	v_cmp_gt_f32_e64 s[12:13], 0, v5
	v_cmp_lt_f32_e64 s[0:1], v4, v1
	v_cndmask_b32_e32 v10, 0, v61, vcc
	v_cndmask_b32_e64 v11, 0, v61, s[12:13]
	v_pk_fma_f32 v[6:7], v[6:7], v[10:11], v[48:49]
	v_pk_fma_f32 v[10:11], v[0:1], v[4:5], 1.0 op_sel_hi:[0,1,0] neg_lo:[1,0,0] neg_hi:[1,0,0]
	v_cmp_lt_f32_e64 s[16:17], v5, v1
	v_cndmask_b32_e64 v11, v11, 1.0, s[12:13]
	v_cndmask_b32_e64 v10, v10, 1.0, vcc
	v_cndmask_b32_e64 v1, 0, 1.0, s[16:17]
	v_cndmask_b32_e64 v0, 0, 1.0, s[0:1]
	v_pk_mul_f32 v[0:1], v[0:1], v[10:11]
	v_cmp_lt_f32_e64 s[0:1], v5, v70
	v_cmp_lt_f32_e64 s[16:17], v4, v70
	v_pk_mul_f32 v[0:1], v[60:61], v[0:1] op_sel_hi:[0,1]
	s_and_b64 s[16:17], s[10:11], s[16:17]
	s_and_b64 s[0:1], s[10:11], s[0:1]
	v_cndmask_b32_e64 v1, v1, -|v1|, s[34:35]
	v_cndmask_b32_e64 v0, v0, -|v0|, s[34:35]
	v_pk_fma_f32 v[2:3], v[2:3], v[4:5], 1.0 op_sel_hi:[0,1,0] neg_lo:[1,0,0] neg_hi:[1,0,0]
	v_cndmask_b32_e64 v5, 0, 1.0, s[0:1]
	v_cndmask_b32_e64 v4, 0, 1.0, s[16:17]
	s_add_u32 s30, s30, 16
	v_pk_fma_f32 v[0:1], v[0:1], s[28:29], v[6:7] op_sel_hi:[1,0,1]
	v_pk_mul_f32 v[4:5], v[12:13], v[4:5] op_sel_hi:[0,1]
	v_cndmask_b32_e64 v3, v3, 1.0, s[12:13]
	v_cndmask_b32_e64 v2, v2, 1.0, vcc
	s_addc_u32 s31, s31, 0
	s_add_i32 s40, s40, -1
	v_pk_fma_f32 v[48:49], v[2:3], v[4:5], v[0:1]
	s_cmp_lg_u32 s40, 0
	s_cbranch_scc1 .LBB6_28
; %bb.29:                               ;   in Loop: Header=BB6_27 Depth=1
	s_add_i32 s26, s26, 1
	s_cmp_lg_u32 s26, s36
	scratch_store_dwordx4 off, v[92:95], off offset:16
	scratch_store_dwordx4 off, v[88:91], off offset:32
	;; [unrolled: 1-line block ×16, first 2 shown]
	s_cbranch_scc1 .LBB6_27
; %bb.30:
	s_and_saveexec_b64 s[0:1], s[14:15]
	s_cbranch_execz .LBB6_32
; %bb.31:
	s_movk_i32 s0, 0x17c4
	scratch_load_dwordx2 v[42:43], off, s0  ; 8-byte Folded Reload
	scratch_load_dwordx4 v[20:23], off, off offset:80
	scratch_load_dwordx4 v[16:19], off, off offset:96
	scratch_load_dwordx4 v[12:15], off, off offset:112
	scratch_load_dwordx4 v[8:11], off, off offset:128
	scratch_load_dwordx4 v[4:7], off, off offset:144
	scratch_load_dwordx4 v[0:3], off, off offset:160
	s_waitcnt vmcnt(6)
	v_mov_b32_e32 v43, 0
	v_mul_f32_e32 v26, 0.5, v92
	v_mul_f32_e32 v27, 0.5, v93
	;; [unrolled: 1-line block ×16, first 2 shown]
	s_waitcnt vmcnt(3)
	v_mul_f32_e32 v12, 0.5, v12
	v_lshl_add_u64 v[24:25], v[42:43], 2, s[20:21]
	v_add_u32_e32 v42, s33, v42
	global_store_dword v[24:25], v26, off
	v_lshl_add_u64 v[24:25], v[42:43], 2, s[20:21]
	v_add_u32_e32 v42, s33, v42
	global_store_dword v[24:25], v27, off
	;; [unrolled: 3-line block ×16, first 2 shown]
	v_lshl_add_u64 v[24:25], v[42:43], 2, s[20:21]
	v_add_u32_e32 v42, s33, v42
	v_lshl_add_u64 v[26:27], v[42:43], 2, s[20:21]
	v_add_u32_e32 v42, s33, v42
	v_lshl_add_u64 v[28:29], v[42:43], 2, s[20:21]
	v_mul_f32_e32 v20, 0.5, v20
	v_mul_f32_e32 v21, 0.5, v21
	;; [unrolled: 1-line block ×3, first 2 shown]
	v_add_u32_e32 v42, s33, v42
	global_store_dword v[24:25], v20, off
	global_store_dword v[26:27], v21, off
	;; [unrolled: 1-line block ×3, first 2 shown]
	v_mul_f32_e32 v22, 0.5, v23
	v_lshl_add_u64 v[20:21], v[42:43], 2, s[20:21]
	v_add_u32_e32 v42, s33, v42
	global_store_dword v[20:21], v22, off
	v_mul_f32_e32 v16, 0.5, v16
	v_lshl_add_u64 v[20:21], v[42:43], 2, s[20:21]
	v_add_u32_e32 v42, s33, v42
	global_store_dword v[20:21], v16, off
	v_mul_f32_e32 v24, 0.5, v17
	scratch_load_dwordx4 v[20:23], off, off offset:176
	v_lshl_add_u64 v[16:17], v[42:43], 2, s[20:21]
	v_add_u32_e32 v42, s33, v42
	global_store_dword v[16:17], v24, off
	v_mul_f32_e32 v18, 0.5, v18
	v_lshl_add_u64 v[16:17], v[42:43], 2, s[20:21]
	v_add_u32_e32 v42, s33, v42
	global_store_dword v[16:17], v18, off
	v_mul_f32_e32 v18, 0.5, v19
	v_lshl_add_u64 v[16:17], v[42:43], 2, s[20:21]
	v_add_u32_e32 v42, s33, v42
	global_store_dword v[16:17], v18, off
	v_lshl_add_u64 v[16:17], v[42:43], 2, s[20:21]
	v_add_u32_e32 v42, s33, v42
	global_store_dword v[16:17], v12, off
	v_mul_f32_e32 v24, 0.5, v13
	scratch_load_dwordx4 v[16:19], off, off offset:192
	v_lshl_add_u64 v[12:13], v[42:43], 2, s[20:21]
	v_add_u32_e32 v42, s33, v42
	global_store_dword v[12:13], v24, off
	v_mul_f32_e32 v14, 0.5, v14
	v_lshl_add_u64 v[12:13], v[42:43], 2, s[20:21]
	v_add_u32_e32 v42, s33, v42
	global_store_dword v[12:13], v14, off
	v_mul_f32_e32 v14, 0.5, v15
	v_lshl_add_u64 v[12:13], v[42:43], 2, s[20:21]
	v_add_u32_e32 v42, s33, v42
	global_store_dword v[12:13], v14, off
	s_waitcnt vmcnt(32)
	v_mul_f32_e32 v8, 0.5, v8
	v_lshl_add_u64 v[12:13], v[42:43], 2, s[20:21]
	global_store_dword v[12:13], v8, off
	scratch_load_dwordx4 v[12:15], off, off offset:208
	v_add_u32_e32 v42, s33, v42
	v_mul_f32_e32 v24, 0.5, v9
	v_lshl_add_u64 v[8:9], v[42:43], 2, s[20:21]
	v_add_u32_e32 v42, s33, v42
	global_store_dword v[8:9], v24, off
	v_mul_f32_e32 v10, 0.5, v10
	v_lshl_add_u64 v[8:9], v[42:43], 2, s[20:21]
	v_add_u32_e32 v42, s33, v42
	global_store_dword v[8:9], v10, off
	;; [unrolled: 4-line block ×3, first 2 shown]
	s_waitcnt vmcnt(36)
	v_mul_f32_e32 v4, 0.5, v4
	v_lshl_add_u64 v[24:25], v[42:43], 2, s[20:21]
	scratch_load_dwordx4 v[8:11], off, off offset:224
	v_add_u32_e32 v42, s33, v42
	global_store_dword v[24:25], v4, off
	v_mul_f32_e32 v24, 0.5, v5
	v_lshl_add_u64 v[4:5], v[42:43], 2, s[20:21]
	v_add_u32_e32 v42, s33, v42
	global_store_dword v[4:5], v24, off
	v_mul_f32_e32 v6, 0.5, v6
	v_lshl_add_u64 v[4:5], v[42:43], 2, s[20:21]
	;; [unrolled: 4-line block ×3, first 2 shown]
	v_add_u32_e32 v42, s33, v42
	global_store_dword v[4:5], v6, off
	s_waitcnt vmcnt(40)
	v_mul_f32_e32 v0, 0.5, v0
	scratch_load_dwordx4 v[4:7], off, off offset:240
	v_lshl_add_u64 v[24:25], v[42:43], 2, s[20:21]
	v_add_u32_e32 v42, s33, v42
	global_store_dword v[24:25], v0, off
	v_mul_f32_e32 v24, 0.5, v1
	v_lshl_add_u64 v[0:1], v[42:43], 2, s[20:21]
	v_add_u32_e32 v42, s33, v42
	global_store_dword v[0:1], v24, off
	v_mul_f32_e32 v2, 0.5, v2
	;; [unrolled: 4-line block ×3, first 2 shown]
	v_lshl_add_u64 v[0:1], v[42:43], 2, s[20:21]
	global_store_dword v[0:1], v2, off
	scratch_load_dwordx4 v[0:3], off, off offset:256
	v_add_u32_e32 v42, s33, v42
	s_waitcnt vmcnt(24)
	v_mul_f32_e32 v20, 0.5, v20
	v_lshl_add_u64 v[24:25], v[42:43], 2, s[20:21]
	v_add_u32_e32 v42, s33, v42
	global_store_dword v[24:25], v20, off
	v_mul_f32_e32 v24, 0.5, v21
	v_lshl_add_u64 v[20:21], v[42:43], 2, s[20:21]
	v_add_u32_e32 v42, s33, v42
	global_store_dword v[20:21], v24, off
	v_mul_f32_e32 v22, 0.5, v22
	v_lshl_add_u64 v[20:21], v[42:43], 2, s[20:21]
	v_add_u32_e32 v42, s33, v42
	global_store_dword v[20:21], v22, off
	v_mul_f32_e32 v22, 0.5, v23
	v_lshl_add_u64 v[20:21], v[42:43], 2, s[20:21]
	v_add_u32_e32 v42, s33, v42
	global_store_dword v[20:21], v22, off
	s_waitcnt vmcnt(23)
	v_mul_f32_e32 v16, 0.5, v16
	v_lshl_add_u64 v[20:21], v[42:43], 2, s[20:21]
	v_add_u32_e32 v42, s33, v42
	global_store_dword v[20:21], v16, off
	v_mul_f32_e32 v20, 0.5, v17
	v_lshl_add_u64 v[16:17], v[42:43], 2, s[20:21]
	v_add_u32_e32 v42, s33, v42
	global_store_dword v[16:17], v20, off
	v_mul_f32_e32 v18, 0.5, v18
	v_lshl_add_u64 v[16:17], v[42:43], 2, s[20:21]
	v_add_u32_e32 v42, s33, v42
	global_store_dword v[16:17], v18, off
	v_mul_f32_e32 v18, 0.5, v19
	v_lshl_add_u64 v[16:17], v[42:43], 2, s[20:21]
	v_add_u32_e32 v42, s33, v42
	global_store_dword v[16:17], v18, off
	;; [unrolled: 17-line block ×5, first 2 shown]
	s_waitcnt vmcnt(20)
	v_mul_f32_e32 v0, 0.5, v0
	v_lshl_add_u64 v[4:5], v[42:43], 2, s[20:21]
	v_add_u32_e32 v42, s33, v42
	global_store_dword v[4:5], v0, off
	v_mul_f32_e32 v4, 0.5, v1
	v_lshl_add_u64 v[0:1], v[42:43], 2, s[20:21]
	v_add_u32_e32 v42, s33, v42
	global_store_dword v[0:1], v4, off
	;; [unrolled: 4-line block ×3, first 2 shown]
	v_mul_f32_e32 v2, 0.5, v3
	v_lshl_add_u64 v[0:1], v[42:43], 2, s[20:21]
	global_store_dword v[0:1], v2, off
.LBB6_32:
	s_endpgm
	.section	.rodata,"a",@progbits
	.p2align	6, 0x0
	.amdhsa_kernel _ZL11fasten_mainILm64EEviiPK4AtomS2_PKfS4_S4_S4_S4_S4_PfPK8FFParamsi
		.amdhsa_group_segment_fixed_size 0
		.amdhsa_private_segment_fixed_size 6096
		.amdhsa_kernarg_size 352
		.amdhsa_user_sgpr_count 2
		.amdhsa_user_sgpr_dispatch_ptr 0
		.amdhsa_user_sgpr_queue_ptr 0
		.amdhsa_user_sgpr_kernarg_segment_ptr 1
		.amdhsa_user_sgpr_dispatch_id 0
		.amdhsa_user_sgpr_kernarg_preload_length 0
		.amdhsa_user_sgpr_kernarg_preload_offset 0
		.amdhsa_user_sgpr_private_segment_size 0
		.amdhsa_uses_dynamic_stack 0
		.amdhsa_enable_private_segment 1
		.amdhsa_system_sgpr_workgroup_id_x 1
		.amdhsa_system_sgpr_workgroup_id_y 0
		.amdhsa_system_sgpr_workgroup_id_z 0
		.amdhsa_system_sgpr_workgroup_info 0
		.amdhsa_system_vgpr_workitem_id 0
		.amdhsa_next_free_vgpr 128
		.amdhsa_next_free_sgpr 49
		.amdhsa_accum_offset 128
		.amdhsa_reserve_vcc 1
		.amdhsa_float_round_mode_32 0
		.amdhsa_float_round_mode_16_64 0
		.amdhsa_float_denorm_mode_32 3
		.amdhsa_float_denorm_mode_16_64 3
		.amdhsa_dx10_clamp 1
		.amdhsa_ieee_mode 1
		.amdhsa_fp16_overflow 0
		.amdhsa_tg_split 0
		.amdhsa_exception_fp_ieee_invalid_op 0
		.amdhsa_exception_fp_denorm_src 0
		.amdhsa_exception_fp_ieee_div_zero 0
		.amdhsa_exception_fp_ieee_overflow 0
		.amdhsa_exception_fp_ieee_underflow 0
		.amdhsa_exception_fp_ieee_inexact 0
		.amdhsa_exception_int_div_zero 0
	.end_amdhsa_kernel
	.section	.text._ZL11fasten_mainILm64EEviiPK4AtomS2_PKfS4_S4_S4_S4_S4_PfPK8FFParamsi,"axG",@progbits,_ZL11fasten_mainILm64EEviiPK4AtomS2_PKfS4_S4_S4_S4_S4_PfPK8FFParamsi,comdat
.Lfunc_end6:
	.size	_ZL11fasten_mainILm64EEviiPK4AtomS2_PKfS4_S4_S4_S4_S4_PfPK8FFParamsi, .Lfunc_end6-_ZL11fasten_mainILm64EEviiPK4AtomS2_PKfS4_S4_S4_S4_S4_PfPK8FFParamsi
                                        ; -- End function
	.set _ZL11fasten_mainILm64EEviiPK4AtomS2_PKfS4_S4_S4_S4_S4_PfPK8FFParamsi.num_vgpr, 128
	.set _ZL11fasten_mainILm64EEviiPK4AtomS2_PKfS4_S4_S4_S4_S4_PfPK8FFParamsi.num_agpr, 0
	.set _ZL11fasten_mainILm64EEviiPK4AtomS2_PKfS4_S4_S4_S4_S4_PfPK8FFParamsi.numbered_sgpr, 49
	.set _ZL11fasten_mainILm64EEviiPK4AtomS2_PKfS4_S4_S4_S4_S4_PfPK8FFParamsi.num_named_barrier, 0
	.set _ZL11fasten_mainILm64EEviiPK4AtomS2_PKfS4_S4_S4_S4_S4_PfPK8FFParamsi.private_seg_size, 6096
	.set _ZL11fasten_mainILm64EEviiPK4AtomS2_PKfS4_S4_S4_S4_S4_PfPK8FFParamsi.uses_vcc, 1
	.set _ZL11fasten_mainILm64EEviiPK4AtomS2_PKfS4_S4_S4_S4_S4_PfPK8FFParamsi.uses_flat_scratch, 0
	.set _ZL11fasten_mainILm64EEviiPK4AtomS2_PKfS4_S4_S4_S4_S4_PfPK8FFParamsi.has_dyn_sized_stack, 0
	.set _ZL11fasten_mainILm64EEviiPK4AtomS2_PKfS4_S4_S4_S4_S4_PfPK8FFParamsi.has_recursion, 0
	.set _ZL11fasten_mainILm64EEviiPK4AtomS2_PKfS4_S4_S4_S4_S4_PfPK8FFParamsi.has_indirect_call, 0
	.section	.AMDGPU.csdata,"",@progbits
; Kernel info:
; codeLenInByte = 36680
; TotalNumSgprs: 55
; NumVgprs: 128
; NumAgprs: 0
; TotalNumVgprs: 128
; ScratchSize: 6096
; MemoryBound: 0
; FloatMode: 240
; IeeeMode: 1
; LDSByteSize: 0 bytes/workgroup (compile time only)
; SGPRBlocks: 6
; VGPRBlocks: 15
; NumSGPRsForWavesPerEU: 55
; NumVGPRsForWavesPerEU: 128
; AccumOffset: 128
; Occupancy: 4
; WaveLimiterHint : 1
; COMPUTE_PGM_RSRC2:SCRATCH_EN: 1
; COMPUTE_PGM_RSRC2:USER_SGPR: 2
; COMPUTE_PGM_RSRC2:TRAP_HANDLER: 0
; COMPUTE_PGM_RSRC2:TGID_X_EN: 1
; COMPUTE_PGM_RSRC2:TGID_Y_EN: 0
; COMPUTE_PGM_RSRC2:TGID_Z_EN: 0
; COMPUTE_PGM_RSRC2:TIDIG_COMP_CNT: 0
; COMPUTE_PGM_RSRC3_GFX90A:ACCUM_OFFSET: 31
; COMPUTE_PGM_RSRC3_GFX90A:TG_SPLIT: 0
	.section	.text._ZL11fasten_mainILm128EEviiPK4AtomS2_PKfS4_S4_S4_S4_S4_PfPK8FFParamsi,"axG",@progbits,_ZL11fasten_mainILm128EEviiPK4AtomS2_PKfS4_S4_S4_S4_S4_PfPK8FFParamsi,comdat
	.globl	_ZL11fasten_mainILm128EEviiPK4AtomS2_PKfS4_S4_S4_S4_S4_PfPK8FFParamsi ; -- Begin function _ZL11fasten_mainILm128EEviiPK4AtomS2_PKfS4_S4_S4_S4_S4_PfPK8FFParamsi
	.p2align	8
	.type	_ZL11fasten_mainILm128EEviiPK4AtomS2_PKfS4_S4_S4_S4_S4_PfPK8FFParamsi,@function
_ZL11fasten_mainILm128EEviiPK4AtomS2_PKfS4_S4_S4_S4_S4_PfPK8FFParamsi: ; @_ZL11fasten_mainILm128EEviiPK4AtomS2_PKfS4_S4_S4_S4_S4_PfPK8FFParamsi
; %bb.0:
	s_load_dword s3, s[0:1], 0x6c
	s_load_dword s4, s[0:1], 0x58
	s_load_dwordx16 s[36:51], s[0:1], 0x8
	s_mov_b32 s11, 0
	s_mov_b32 s16, 16
	s_waitcnt lgkmcnt(0)
	s_and_b32 s33, s3, 0xffff
	s_mul_i32 s2, s2, s33
	v_lshl_add_u32 v40, s2, 7, v0
	s_add_i32 s2, s4, 0xffffff80
	v_mov_b32_e32 v0, s2
	v_cmp_gt_i32_e64 s[2:3], s4, v40
	s_lshl_b32 s10, s33, 2
	s_brev_b32 s17, 18
	v_cndmask_b32_e64 v0, v0, v40, s[2:3]
	v_ashrrev_i32_e32 v1, 31, v0
	v_lshlrev_b64 v[0:1], 2, v[0:1]
	s_mov_b32 s18, 0xfe5163ab
	v_mov_b32_e32 v3, 0
	s_mov_b32 s19, 0x3c439041
	s_mov_b32 s20, 0xdb629599
	;; [unrolled: 1-line block ×9, first 2 shown]
	v_mov_b32_e32 v5, 0x3c0881c4
	v_mov_b32_e32 v6, 0xbab64f3b
	s_brev_b32 s28, 1
	s_movk_i32 s29, 0x1f8
	v_not_b32_e32 v7, 63
	v_not_b32_e32 v8, 31
	v_mov_b32_e32 v9, 0x7fc00000
	s_mov_b32 s30, s11
                                        ; implicit-def: $vgpr2
                                        ; implicit-def: $vgpr2
	;; [unrolled: 1-line block ×3, first 2 shown]
	s_branch .LBB7_2
.LBB7_1:                                ;   in Loop: Header=BB7_2 Depth=1
	s_or_b64 exec, exec, s[4:5]
	v_mul_f32_e32 v2, v26, v26
	v_fmamk_f32 v27, v2, 0xb94c1982, v5
	v_fmaak_f32 v27, v2, v27, 0xbe2aaa9d
	v_mul_f32_e32 v27, v2, v27
	v_fmac_f32_e32 v26, v26, v27
	v_fmamk_f32 v27, v2, 0x37d75334, v6
	v_fmaak_f32 v27, v2, v27, 0x3d2aabf7
	v_fmaak_f32 v27, v2, v27, 0xbf000004
	v_fma_f32 v2, v2, v27, 1.0
	v_and_b32_e32 v27, 1, v25
	v_lshlrev_b32_e32 v25, 30, v25
	v_cmp_eq_u32_e32 vcc, 0, v27
	v_and_b32_e32 v25, 0x80000000, v25
	v_xor_b32_e32 v22, v22, v21
	v_cndmask_b32_e32 v2, v2, v26, vcc
	v_xor_b32_e32 v22, v22, v25
	v_cmp_class_f32_e64 vcc, v21, s29
	v_mul_f32_e32 v21, v20, v20
	v_xor_b32_e32 v2, v22, v2
	v_fmamk_f32 v22, v21, 0xb94c1982, v5
	v_fmaak_f32 v22, v21, v22, 0xbe2aaa9d
	v_mul_f32_e32 v22, v21, v22
	v_fmac_f32_e32 v20, v20, v22
	v_fmamk_f32 v22, v21, 0x37d75334, v6
	v_fmaak_f32 v22, v21, v22, 0x3d2aabf7
	v_fmaak_f32 v22, v21, v22, 0xbf000004
	v_fma_f32 v21, v21, v22, 1.0
	v_and_b32_e32 v22, 1, v4
	v_cmp_eq_u32_e64 s[4:5], 0, v22
	v_lshlrev_b32_e32 v4, 30, v4
	v_lshl_add_u64 v[26:27], s[48:49], 0, v[0:1]
	v_cndmask_b32_e64 v20, -v20, v21, s[4:5]
	v_bitop3_b32 v4, v4, v20, s28 bitop3:0x6c
	v_lshl_add_u64 v[20:21], s[46:47], 0, v[0:1]
	global_load_dword v21, v[20:21], off
	v_mul_f32_e32 v20, v19, v19
	global_load_dword v25, v[26:27], off
	v_lshl_add_u64 v[26:27], s[50:51], 0, v[0:1]
	global_load_dword v27, v[26:27], off
	v_fmamk_f32 v22, v20, 0xb94c1982, v5
	v_fmaak_f32 v22, v20, v22, 0xbe2aaa9d
	v_mul_f32_e32 v22, v20, v22
	v_fmac_f32_e32 v19, v19, v22
	v_fmamk_f32 v22, v20, 0x37d75334, v6
	v_fmaak_f32 v22, v20, v22, 0x3d2aabf7
	v_fmaak_f32 v22, v20, v22, 0xbf000004
	v_fma_f32 v20, v20, v22, 1.0
	v_and_b32_e32 v22, 1, v18
	v_lshlrev_b32_e32 v18, 30, v18
	v_cmp_class_f32_e64 s[4:5], v16, s29
	v_and_b32_e32 v18, 0x80000000, v18
	v_xor_b32_e32 v16, v17, v16
	v_mul_f32_e32 v17, v15, v15
	v_xor_b32_e32 v16, v16, v18
	v_fmamk_f32 v18, v17, 0xb94c1982, v5
	v_fmaak_f32 v18, v17, v18, 0xbe2aaa9d
	v_mul_f32_e32 v18, v17, v18
	v_fmac_f32_e32 v15, v15, v18
	v_fmamk_f32 v18, v17, 0x37d75334, v6
	v_cmp_eq_u32_e64 s[6:7], 0, v22
	v_fmaak_f32 v18, v17, v18, 0x3d2aabf7
	v_fmaak_f32 v18, v17, v18, 0xbf000004
	v_cndmask_b32_e64 v19, v20, v19, s[6:7]
	v_xor_b32_e32 v16, v16, v19
	v_fma_f32 v17, v17, v18, 1.0
	v_and_b32_e32 v18, 1, v14
	v_cndmask_b32_e64 v4, v9, v4, s[4:5]
	v_cndmask_b32_e64 v16, v9, v16, s[4:5]
	v_cmp_eq_u32_e64 s[4:5], 0, v18
	v_lshlrev_b32_e32 v14, 30, v14
	v_cndmask_b32_e32 v2, v9, v2, vcc
	v_cndmask_b32_e64 v15, -v15, v17, s[4:5]
	v_bitop3_b32 v14, v14, v15, s28 bitop3:0x6c
	v_cmp_class_f32_e64 s[4:5], v10, s29
	v_xor_b32_e32 v10, v11, v10
	v_lshl_add_u64 v[0:1], v[0:1], 0, s[10:11]
	v_cndmask_b32_e64 v15, v9, v14, s[4:5]
	v_mul_f32_e32 v14, v13, v13
	v_fmamk_f32 v17, v14, 0xb94c1982, v5
	v_fmaak_f32 v17, v14, v17, 0xbe2aaa9d
	v_mul_f32_e32 v17, v14, v17
	v_fmac_f32_e32 v13, v13, v17
	v_fmamk_f32 v17, v14, 0x37d75334, v6
	v_fmaak_f32 v17, v14, v17, 0x3d2aabf7
	v_fmaak_f32 v17, v14, v17, 0xbf000004
	v_fma_f32 v14, v14, v17, 1.0
	v_and_b32_e32 v17, 1, v12
	v_lshlrev_b32_e32 v12, 30, v12
	v_cmp_eq_u32_e64 s[6:7], 0, v17
	v_and_b32_e32 v12, 0x80000000, v12
	v_xor_b32_e32 v10, v10, v12
	v_cndmask_b32_e64 v13, v14, v13, s[6:7]
	v_xor_b32_e32 v10, v10, v13
	v_cndmask_b32_e64 v14, v9, v10, s[4:5]
	v_mul_f32_e32 v10, v24, v24
	v_fmamk_f32 v11, v10, 0xb94c1982, v5
	v_fmaak_f32 v11, v10, v11, 0xbe2aaa9d
	v_mul_f32_e32 v11, v10, v11
	v_fmac_f32_e32 v24, v24, v11
	v_fmamk_f32 v11, v10, 0x37d75334, v6
	v_fmaak_f32 v11, v10, v11, 0x3d2aabf7
	v_fmaak_f32 v11, v10, v11, 0xbf000004
	v_fma_f32 v10, v10, v11, 1.0
	v_and_b32_e32 v11, 1, v23
	v_cmp_eq_u32_e64 s[4:5], 0, v11
	v_lshlrev_b32_e32 v11, 30, v23
	v_pk_mul_f32 v[12:13], v[14:15], v[16:17] op_sel_hi:[1,0]
	v_cndmask_b32_e64 v10, -v24, v10, s[4:5]
	v_bitop3_b32 v10, v11, v10, s28 bitop3:0x6c
	v_cndmask_b32_e32 v10, v9, v10, vcc
	v_pk_mul_f32 v[22:23], v[14:15], v[2:3] op_sel_hi:[1,0]
	v_pk_mul_f32 v[28:29], v[12:13], v[10:11] op_sel_hi:[1,0]
	v_pk_fma_f32 v[30:31], v[12:13], v[10:11], v[22:23] op_sel:[0,0,1] op_sel_hi:[1,0,0]
	v_mul_f32_e32 v18, v4, v10
	s_add_i32 s4, s30, 0x210
	v_sub_f32_e32 v19, v28, v23
	v_mov_b32_e32 v20, v31
	s_waitcnt vmcnt(2)
	scratch_store_dwordx4 off, v[18:21], s4
	v_mul_f32_e32 v22, v4, v2
	s_add_i32 s5, s4, 16
	v_mov_b32_e32 v20, v15
	v_mov_b32_e32 v21, v14
	v_pk_mul_f32 v[10:11], v[20:21], v[10:11] op_sel_hi:[1,0]
	v_pk_mul_f32 v[18:19], v[12:13], v[2:3] op_sel_hi:[1,0]
	v_pk_fma_f32 v[12:13], v[12:13], v[2:3], v[10:11] op_sel_hi:[1,0,1] neg_lo:[0,0,1] neg_hi:[0,0,1]
	v_add_f32_e32 v23, v18, v10
	v_mov_b32_e32 v24, v13
	v_pk_mul_f32 v[10:11], v[14:15], v[4:5] op_sel_hi:[1,0]
	s_waitcnt vmcnt(2)
	scratch_store_dwordx4 off, v[22:25], s5
	s_add_i32 s4, s4, 32
	v_mov_b32_e32 v26, v11
	v_xor_b32_e32 v24, 0x80000000, v16
	v_mov_b32_e32 v25, v10
	s_waitcnt vmcnt(2)
	scratch_store_dwordx4 off, v[24:27], s4
	scratch_store_dword off, v3, s16
	s_add_i32 s30, s30, 48
	s_add_i32 s16, s16, 4
	s_cmpk_lg_i32 s30, 0x1800
	s_cbranch_scc0 .LBB7_26
.LBB7_2:                                ; =>This Inner Loop Header: Depth=1
	v_lshl_add_u64 v[10:11], s[40:41], 0, v[0:1]
	global_load_dword v10, v[10:11], off
                                        ; implicit-def: $vgpr12
                                        ; implicit-def: $vgpr13
	s_waitcnt vmcnt(0)
	v_and_b32_e32 v11, 0x7fffffff, v10
	v_lshrrev_b32_e32 v2, 23, v11
	v_and_b32_e32 v4, 0x7fffff, v11
	v_cmp_nlt_f32_e64 s[12:13], |v10|, s17
	v_add_u32_e32 v16, 0xffffff88, v2
	v_or_b32_e32 v4, 0x800000, v4
	s_and_saveexec_b64 s[4:5], s[12:13]
	s_xor_b64 s[14:15], exec, s[4:5]
	s_cbranch_execz .LBB7_4
; %bb.3:                                ;   in Loop: Header=BB7_2 Depth=1
	v_cmp_lt_u32_e32 vcc, 63, v16
	s_nop 1
	v_cndmask_b32_e32 v2, 0, v7, vcc
	v_add_u32_e32 v2, v2, v16
	v_cmp_lt_u32_e64 s[4:5], 31, v2
	s_nop 1
	v_cndmask_b32_e64 v12, 0, v8, s[4:5]
	v_add_u32_e32 v2, v12, v2
	v_cmp_lt_u32_e64 s[6:7], 31, v2
	s_nop 1
	v_cndmask_b32_e64 v12, 0, v8, s[6:7]
	v_add_u32_e32 v17, v12, v2
	v_mad_u64_u32 v[12:13], s[8:9], v4, s18, 0
	v_mov_b32_e32 v2, v13
	v_mad_u64_u32 v[14:15], s[8:9], v4, s19, v[2:3]
	v_mov_b32_e32 v2, v15
	;; [unrolled: 2-line block ×6, first 2 shown]
	v_mad_u64_u32 v[26:27], s[8:9], v4, s24, v[2:3]
	v_cndmask_b32_e32 v13, v24, v20, vcc
	v_cndmask_b32_e32 v2, v26, v22, vcc
	;; [unrolled: 1-line block ×3, first 2 shown]
	v_cndmask_b32_e64 v15, v2, v13, s[4:5]
	v_cndmask_b32_e64 v2, v19, v2, s[4:5]
	v_cndmask_b32_e32 v19, v22, v18, vcc
	v_cndmask_b32_e64 v13, v13, v19, s[4:5]
	v_cndmask_b32_e32 v14, v20, v14, vcc
	v_cndmask_b32_e64 v2, v2, v15, s[6:7]
	v_cndmask_b32_e64 v15, v15, v13, s[6:7]
	v_sub_u32_e32 v21, 32, v17
	v_cmp_eq_u32_e64 s[8:9], 0, v17
	v_cndmask_b32_e64 v17, v19, v14, s[4:5]
	v_alignbit_b32 v22, v2, v15, v21
	v_cndmask_b32_e64 v13, v13, v17, s[6:7]
	v_cndmask_b32_e32 v12, v18, v12, vcc
	v_cndmask_b32_e64 v2, v22, v2, s[8:9]
	v_alignbit_b32 v19, v15, v13, v21
	v_cndmask_b32_e64 v12, v14, v12, s[4:5]
	v_cndmask_b32_e64 v15, v19, v15, s[8:9]
	v_bfe_u32 v22, v2, 29, 1
	v_cndmask_b32_e64 v12, v17, v12, s[6:7]
	v_alignbit_b32 v19, v2, v15, 30
	v_sub_u32_e32 v23, 0, v22
	v_alignbit_b32 v14, v13, v12, v21
	v_xor_b32_e32 v19, v19, v23
	v_cndmask_b32_e64 v13, v14, v13, s[8:9]
	v_alignbit_b32 v14, v15, v13, 30
	v_ffbh_u32_e32 v15, v19
	v_min_u32_e32 v15, 32, v15
	v_alignbit_b32 v12, v13, v12, 30
	v_xor_b32_e32 v14, v14, v23
	v_sub_u32_e32 v17, 31, v15
	v_xor_b32_e32 v12, v12, v23
	v_alignbit_b32 v18, v19, v14, v17
	v_alignbit_b32 v12, v14, v12, v17
	;; [unrolled: 1-line block ×3, first 2 shown]
	v_ffbh_u32_e32 v14, v13
	v_min_u32_e32 v14, 32, v14
	v_lshrrev_b32_e32 v20, 29, v2
	v_not_b32_e32 v17, v14
	v_alignbit_b32 v12, v13, v12, v17
	v_lshlrev_b32_e32 v13, 31, v20
	v_or_b32_e32 v17, 0x33000000, v13
	v_add_lshl_u32 v14, v14, v15, 23
	v_lshrrev_b32_e32 v12, 9, v12
	v_sub_u32_e32 v14, v17, v14
	v_or_b32_e32 v13, 0.5, v13
	v_lshlrev_b32_e32 v15, 23, v15
	v_or_b32_e32 v12, v14, v12
	v_lshrrev_b32_e32 v14, 9, v18
	v_sub_u32_e32 v13, v13, v15
	v_or_b32_e32 v13, v14, v13
	v_mul_f32_e32 v14, 0x3fc90fda, v13
	v_fma_f32 v15, v13, s25, -v14
	v_fmac_f32_e32 v15, 0x33a22168, v13
	v_fmac_f32_e32 v15, 0x3fc90fda, v12
	v_lshrrev_b32_e32 v2, 30, v2
	v_add_f32_e32 v13, v14, v15
	v_add_u32_e32 v12, v22, v2
.LBB7_4:                                ;   in Loop: Header=BB7_2 Depth=1
	s_or_saveexec_b64 s[4:5], s[14:15]
	v_mul_f32_e64 v2, |v10|, s26
	v_rndne_f32_e32 v2, v2
	s_xor_b64 exec, exec, s[4:5]
; %bb.5:                                ;   in Loop: Header=BB7_2 Depth=1
	v_cvt_i32_f32_e32 v12, v2
	v_fma_f32 v13, v2, s27, |v10|
	v_fmac_f32_e32 v13, 0xb3a22168, v2
	v_fmac_f32_e32 v13, 0xa7c234c4, v2
; %bb.6:                                ;   in Loop: Header=BB7_2 Depth=1
	s_or_b64 exec, exec, s[4:5]
                                        ; implicit-def: $vgpr14
                                        ; implicit-def: $vgpr15
	s_and_saveexec_b64 s[4:5], s[12:13]
	s_xor_b64 s[12:13], exec, s[4:5]
	s_cbranch_execz .LBB7_8
; %bb.7:                                ;   in Loop: Header=BB7_2 Depth=1
	v_cmp_lt_u32_e32 vcc, 63, v16
	s_nop 1
	v_cndmask_b32_e32 v2, 0, v7, vcc
	v_add_u32_e32 v2, v2, v16
	v_cmp_lt_u32_e64 s[4:5], 31, v2
	s_nop 1
	v_cndmask_b32_e64 v14, 0, v8, s[4:5]
	v_add_u32_e32 v2, v14, v2
	v_cmp_lt_u32_e64 s[6:7], 31, v2
	s_nop 1
	v_cndmask_b32_e64 v14, 0, v8, s[6:7]
	v_add_u32_e32 v28, v14, v2
	v_mad_u64_u32 v[14:15], s[8:9], v4, s18, 0
	v_mov_b32_e32 v2, v15
	v_mad_u64_u32 v[16:17], s[8:9], v4, s19, v[2:3]
	v_mov_b32_e32 v2, v17
	;; [unrolled: 2-line block ×6, first 2 shown]
	v_mad_u64_u32 v[26:27], s[8:9], v4, s24, v[2:3]
	v_cndmask_b32_e32 v15, v24, v20, vcc
	v_cndmask_b32_e32 v2, v26, v22, vcc
	v_cndmask_b32_e32 v17, v27, v24, vcc
	v_cndmask_b32_e64 v4, v2, v15, s[4:5]
	v_cndmask_b32_e64 v2, v17, v2, s[4:5]
	v_cndmask_b32_e32 v17, v22, v18, vcc
	v_cndmask_b32_e64 v15, v15, v17, s[4:5]
	v_cndmask_b32_e32 v16, v20, v16, vcc
	v_cndmask_b32_e64 v2, v2, v4, s[6:7]
	v_cndmask_b32_e64 v4, v4, v15, s[6:7]
	v_sub_u32_e32 v19, 32, v28
	v_cndmask_b32_e64 v17, v17, v16, s[4:5]
	v_alignbit_b32 v21, v2, v4, v19
	v_cmp_eq_u32_e64 s[8:9], 0, v28
	v_cndmask_b32_e64 v15, v15, v17, s[6:7]
	v_alignbit_b32 v20, v4, v15, v19
	v_cndmask_b32_e64 v2, v21, v2, s[8:9]
	v_cndmask_b32_e32 v14, v18, v14, vcc
	v_cndmask_b32_e64 v4, v20, v4, s[8:9]
	v_bfe_u32 v22, v2, 29, 1
	v_cndmask_b32_e64 v14, v16, v14, s[4:5]
	v_alignbit_b32 v20, v2, v4, 30
	v_sub_u32_e32 v23, 0, v22
	v_cndmask_b32_e64 v14, v17, v14, s[6:7]
	v_xor_b32_e32 v20, v20, v23
	v_alignbit_b32 v16, v15, v14, v19
	v_cndmask_b32_e64 v15, v16, v15, s[8:9]
	v_ffbh_u32_e32 v16, v20
	v_alignbit_b32 v4, v4, v15, 30
	v_min_u32_e32 v16, 32, v16
	v_alignbit_b32 v14, v15, v14, 30
	v_xor_b32_e32 v4, v4, v23
	v_sub_u32_e32 v17, 31, v16
	v_xor_b32_e32 v14, v14, v23
	v_alignbit_b32 v18, v20, v4, v17
	v_alignbit_b32 v4, v4, v14, v17
	;; [unrolled: 1-line block ×3, first 2 shown]
	v_ffbh_u32_e32 v15, v14
	v_min_u32_e32 v15, 32, v15
	v_lshrrev_b32_e32 v21, 29, v2
	v_not_b32_e32 v17, v15
	v_alignbit_b32 v4, v14, v4, v17
	v_lshlrev_b32_e32 v14, 31, v21
	v_or_b32_e32 v17, 0x33000000, v14
	v_add_lshl_u32 v15, v15, v16, 23
	v_lshrrev_b32_e32 v4, 9, v4
	v_sub_u32_e32 v15, v17, v15
	v_or_b32_e32 v14, 0.5, v14
	v_lshlrev_b32_e32 v16, 23, v16
	v_or_b32_e32 v4, v15, v4
	v_lshrrev_b32_e32 v15, 9, v18
	v_sub_u32_e32 v14, v14, v16
	v_or_b32_e32 v14, v15, v14
	v_mul_f32_e32 v15, 0x3fc90fda, v14
	v_fma_f32 v16, v14, s25, -v15
	v_fmac_f32_e32 v16, 0x33a22168, v14
	v_fmac_f32_e32 v16, 0x3fc90fda, v4
	v_lshrrev_b32_e32 v2, 30, v2
	v_add_f32_e32 v15, v15, v16
	v_add_u32_e32 v14, v22, v2
                                        ; implicit-def: $vgpr2
	s_andn2_saveexec_b64 s[4:5], s[12:13]
	s_cbranch_execnz .LBB7_9
	s_branch .LBB7_10
.LBB7_8:                                ;   in Loop: Header=BB7_2 Depth=1
	s_andn2_saveexec_b64 s[4:5], s[12:13]
.LBB7_9:                                ;   in Loop: Header=BB7_2 Depth=1
	v_cvt_i32_f32_e32 v14, v2
	v_fma_f32 v15, v2, s27, |v10|
	v_fmac_f32_e32 v15, 0xb3a22168, v2
	v_fmac_f32_e32 v15, 0xa7c234c4, v2
.LBB7_10:                               ;   in Loop: Header=BB7_2 Depth=1
	s_or_b64 exec, exec, s[4:5]
	v_lshl_add_u64 v[16:17], s[42:43], 0, v[0:1]
	global_load_dword v16, v[16:17], off
                                        ; implicit-def: $vgpr18
                                        ; implicit-def: $vgpr19
	s_waitcnt vmcnt(0)
	v_and_b32_e32 v17, 0x7fffffff, v16
	v_lshrrev_b32_e32 v2, 23, v17
	v_and_b32_e32 v4, 0x7fffff, v17
	v_cmp_nlt_f32_e64 s[12:13], |v16|, s17
	v_add_u32_e32 v22, 0xffffff88, v2
	v_or_b32_e32 v21, 0x800000, v4
	s_and_saveexec_b64 s[4:5], s[12:13]
	s_xor_b64 s[14:15], exec, s[4:5]
	s_cbranch_execz .LBB7_12
; %bb.11:                               ;   in Loop: Header=BB7_2 Depth=1
	v_cmp_lt_u32_e32 vcc, 63, v22
	v_mad_u64_u32 v[18:19], s[8:9], v21, s18, 0
	s_nop 0
	v_cndmask_b32_e32 v2, 0, v7, vcc
	v_add_u32_e32 v2, v2, v22
	v_cmp_lt_u32_e64 s[4:5], 31, v2
	s_nop 1
	v_cndmask_b32_e64 v4, 0, v8, s[4:5]
	v_add_u32_e32 v2, v4, v2
	v_cmp_lt_u32_e64 s[6:7], 31, v2
	s_nop 1
	v_cndmask_b32_e64 v4, 0, v8, s[6:7]
	v_add_u32_e32 v4, v4, v2
	v_mov_b32_e32 v2, v19
	v_mad_u64_u32 v[24:25], s[8:9], v21, s19, v[2:3]
	v_mov_b32_e32 v2, v25
	v_mad_u64_u32 v[26:27], s[8:9], v21, s20, v[2:3]
	;; [unrolled: 2-line block ×6, first 2 shown]
	v_cndmask_b32_e32 v19, v32, v28, vcc
	v_cndmask_b32_e32 v2, v34, v30, vcc
	;; [unrolled: 1-line block ×3, first 2 shown]
	v_cndmask_b32_e64 v20, v2, v19, s[4:5]
	v_cndmask_b32_e64 v2, v23, v2, s[4:5]
	v_cndmask_b32_e32 v23, v30, v26, vcc
	v_cndmask_b32_e64 v19, v19, v23, s[4:5]
	v_sub_u32_e32 v25, 32, v4
	v_cmp_eq_u32_e64 s[8:9], 0, v4
	v_cndmask_b32_e32 v4, v28, v24, vcc
	v_cndmask_b32_e64 v2, v2, v20, s[6:7]
	v_cndmask_b32_e64 v20, v20, v19, s[6:7]
	v_cndmask_b32_e64 v23, v23, v4, s[4:5]
	v_alignbit_b32 v27, v2, v20, v25
	v_cndmask_b32_e64 v19, v19, v23, s[6:7]
	v_cndmask_b32_e32 v18, v26, v18, vcc
	v_cndmask_b32_e64 v2, v27, v2, s[8:9]
	v_alignbit_b32 v24, v20, v19, v25
	v_cndmask_b32_e64 v4, v4, v18, s[4:5]
	v_cndmask_b32_e64 v20, v24, v20, s[8:9]
	v_bfe_u32 v28, v2, 29, 1
	v_cndmask_b32_e64 v4, v23, v4, s[6:7]
	v_alignbit_b32 v24, v2, v20, 30
	v_sub_u32_e32 v29, 0, v28
	v_alignbit_b32 v18, v19, v4, v25
	v_xor_b32_e32 v24, v24, v29
	v_cndmask_b32_e64 v18, v18, v19, s[8:9]
	v_alignbit_b32 v19, v20, v18, 30
	v_ffbh_u32_e32 v20, v24
	v_min_u32_e32 v20, 32, v20
	v_alignbit_b32 v4, v18, v4, 30
	v_xor_b32_e32 v19, v19, v29
	v_sub_u32_e32 v23, 31, v20
	v_xor_b32_e32 v4, v4, v29
	v_alignbit_b32 v24, v24, v19, v23
	v_alignbit_b32 v4, v19, v4, v23
	;; [unrolled: 1-line block ×3, first 2 shown]
	v_ffbh_u32_e32 v19, v18
	v_min_u32_e32 v19, 32, v19
	v_lshrrev_b32_e32 v27, 29, v2
	v_not_b32_e32 v23, v19
	v_alignbit_b32 v4, v18, v4, v23
	v_lshlrev_b32_e32 v18, 31, v27
	v_or_b32_e32 v23, 0x33000000, v18
	v_add_lshl_u32 v19, v19, v20, 23
	v_lshrrev_b32_e32 v4, 9, v4
	v_sub_u32_e32 v19, v23, v19
	v_or_b32_e32 v18, 0.5, v18
	v_lshlrev_b32_e32 v20, 23, v20
	v_or_b32_e32 v4, v19, v4
	v_lshrrev_b32_e32 v19, 9, v24
	v_sub_u32_e32 v18, v18, v20
	v_or_b32_e32 v18, v19, v18
	v_mul_f32_e32 v19, 0x3fc90fda, v18
	v_fma_f32 v20, v18, s25, -v19
	v_fmac_f32_e32 v20, 0x33a22168, v18
	v_fmac_f32_e32 v20, 0x3fc90fda, v4
	v_lshrrev_b32_e32 v2, 30, v2
	v_add_f32_e32 v19, v19, v20
	v_add_u32_e32 v18, v28, v2
.LBB7_12:                               ;   in Loop: Header=BB7_2 Depth=1
	s_or_saveexec_b64 s[4:5], s[14:15]
	v_mul_f32_e64 v2, |v16|, s26
	v_rndne_f32_e32 v2, v2
	s_xor_b64 exec, exec, s[4:5]
; %bb.13:                               ;   in Loop: Header=BB7_2 Depth=1
	v_cvt_i32_f32_e32 v18, v2
	v_fma_f32 v19, v2, s27, |v16|
	v_fmac_f32_e32 v19, 0xb3a22168, v2
	v_fmac_f32_e32 v19, 0xa7c234c4, v2
; %bb.14:                               ;   in Loop: Header=BB7_2 Depth=1
	s_or_b64 exec, exec, s[4:5]
                                        ; implicit-def: $vgpr4
                                        ; implicit-def: $vgpr20
	s_and_saveexec_b64 s[4:5], s[12:13]
	s_xor_b64 s[12:13], exec, s[4:5]
	s_cbranch_execz .LBB7_16
; %bb.15:                               ;   in Loop: Header=BB7_2 Depth=1
	v_cmp_lt_u32_e32 vcc, 63, v22
	s_nop 1
	v_cndmask_b32_e32 v2, 0, v7, vcc
	v_add_u32_e32 v2, v2, v22
	v_cmp_lt_u32_e64 s[4:5], 31, v2
	v_mad_u64_u32 v[22:23], s[8:9], v21, s18, 0
	s_nop 0
	v_cndmask_b32_e64 v4, 0, v8, s[4:5]
	v_add_u32_e32 v2, v4, v2
	v_cmp_lt_u32_e64 s[6:7], 31, v2
	s_nop 1
	v_cndmask_b32_e64 v4, 0, v8, s[6:7]
	v_add_u32_e32 v4, v4, v2
	v_mov_b32_e32 v2, v23
	v_mad_u64_u32 v[24:25], s[8:9], v21, s19, v[2:3]
	v_mov_b32_e32 v2, v25
	v_mad_u64_u32 v[26:27], s[8:9], v21, s20, v[2:3]
	;; [unrolled: 2-line block ×6, first 2 shown]
	v_cndmask_b32_e32 v23, v32, v28, vcc
	v_cndmask_b32_e32 v2, v20, v30, vcc
	;; [unrolled: 1-line block ×3, first 2 shown]
	v_cndmask_b32_e64 v20, v2, v23, s[4:5]
	v_cndmask_b32_e64 v2, v21, v2, s[4:5]
	v_cndmask_b32_e32 v21, v30, v26, vcc
	v_cndmask_b32_e64 v23, v23, v21, s[4:5]
	v_sub_u32_e32 v25, 32, v4
	v_cmp_eq_u32_e64 s[8:9], 0, v4
	v_cndmask_b32_e32 v4, v28, v24, vcc
	v_cndmask_b32_e64 v2, v2, v20, s[6:7]
	v_cndmask_b32_e64 v20, v20, v23, s[6:7]
	;; [unrolled: 1-line block ×3, first 2 shown]
	v_alignbit_b32 v27, v2, v20, v25
	v_cndmask_b32_e64 v23, v23, v21, s[6:7]
	v_cndmask_b32_e64 v2, v27, v2, s[8:9]
	v_alignbit_b32 v24, v20, v23, v25
	v_cndmask_b32_e32 v22, v26, v22, vcc
	v_cndmask_b32_e64 v20, v24, v20, s[8:9]
	v_bfe_u32 v28, v2, 29, 1
	v_cndmask_b32_e64 v4, v4, v22, s[4:5]
	v_alignbit_b32 v24, v2, v20, 30
	v_sub_u32_e32 v29, 0, v28
	v_cndmask_b32_e64 v4, v21, v4, s[6:7]
	v_xor_b32_e32 v24, v24, v29
	v_alignbit_b32 v21, v23, v4, v25
	v_cndmask_b32_e64 v21, v21, v23, s[8:9]
	v_ffbh_u32_e32 v22, v24
	v_alignbit_b32 v20, v20, v21, 30
	v_min_u32_e32 v22, 32, v22
	v_alignbit_b32 v4, v21, v4, 30
	v_xor_b32_e32 v20, v20, v29
	v_sub_u32_e32 v23, 31, v22
	v_xor_b32_e32 v4, v4, v29
	v_alignbit_b32 v24, v24, v20, v23
	v_alignbit_b32 v4, v20, v4, v23
	;; [unrolled: 1-line block ×3, first 2 shown]
	v_ffbh_u32_e32 v21, v20
	v_min_u32_e32 v21, 32, v21
	v_lshrrev_b32_e32 v27, 29, v2
	v_not_b32_e32 v23, v21
	v_alignbit_b32 v4, v20, v4, v23
	v_lshlrev_b32_e32 v20, 31, v27
	v_or_b32_e32 v23, 0x33000000, v20
	v_add_lshl_u32 v21, v21, v22, 23
	v_lshrrev_b32_e32 v4, 9, v4
	v_sub_u32_e32 v21, v23, v21
	v_or_b32_e32 v20, 0.5, v20
	v_lshlrev_b32_e32 v22, 23, v22
	v_or_b32_e32 v4, v21, v4
	v_lshrrev_b32_e32 v21, 9, v24
	v_sub_u32_e32 v20, v20, v22
	v_or_b32_e32 v20, v21, v20
	v_mul_f32_e32 v21, 0x3fc90fda, v20
	v_fma_f32 v22, v20, s25, -v21
	v_fmac_f32_e32 v22, 0x33a22168, v20
	v_fmac_f32_e32 v22, 0x3fc90fda, v4
	v_lshrrev_b32_e32 v2, 30, v2
	v_add_f32_e32 v20, v21, v22
	v_add_u32_e32 v4, v28, v2
                                        ; implicit-def: $vgpr2
	s_andn2_saveexec_b64 s[4:5], s[12:13]
	s_cbranch_execnz .LBB7_17
	s_branch .LBB7_18
.LBB7_16:                               ;   in Loop: Header=BB7_2 Depth=1
	s_andn2_saveexec_b64 s[4:5], s[12:13]
.LBB7_17:                               ;   in Loop: Header=BB7_2 Depth=1
	v_cvt_i32_f32_e32 v4, v2
	v_fma_f32 v20, v2, s27, |v16|
	v_fmac_f32_e32 v20, 0xb3a22168, v2
	v_fmac_f32_e32 v20, 0xa7c234c4, v2
.LBB7_18:                               ;   in Loop: Header=BB7_2 Depth=1
	s_or_b64 exec, exec, s[4:5]
	v_lshl_add_u64 v[22:23], s[44:45], 0, v[0:1]
	global_load_dword v21, v[22:23], off
                                        ; implicit-def: $vgpr25
                                        ; implicit-def: $vgpr26
	s_waitcnt vmcnt(0)
	v_and_b32_e32 v22, 0x7fffffff, v21
	v_lshrrev_b32_e32 v2, 23, v22
	v_and_b32_e32 v23, 0x7fffff, v22
	v_cmp_nlt_f32_e64 s[12:13], |v21|, s17
	v_add_u32_e32 v28, 0xffffff88, v2
	v_or_b32_e32 v27, 0x800000, v23
	s_and_saveexec_b64 s[4:5], s[12:13]
	s_xor_b64 s[14:15], exec, s[4:5]
	s_cbranch_execz .LBB7_20
; %bb.19:                               ;   in Loop: Header=BB7_2 Depth=1
	v_cmp_lt_u32_e32 vcc, 63, v28
	v_mad_u64_u32 v[24:25], s[8:9], v27, s18, 0
	s_nop 0
	v_cndmask_b32_e32 v2, 0, v7, vcc
	v_add_u32_e32 v2, v2, v28
	v_cmp_lt_u32_e64 s[4:5], 31, v2
	s_nop 1
	v_cndmask_b32_e64 v23, 0, v8, s[4:5]
	v_add_u32_e32 v2, v23, v2
	v_cmp_lt_u32_e64 s[6:7], 31, v2
	s_nop 1
	v_cndmask_b32_e64 v23, 0, v8, s[6:7]
	v_add_u32_e32 v23, v23, v2
	v_mov_b32_e32 v2, v25
	v_mad_u64_u32 v[30:31], s[8:9], v27, s19, v[2:3]
	v_mov_b32_e32 v2, v31
	v_mad_u64_u32 v[32:33], s[8:9], v27, s20, v[2:3]
	;; [unrolled: 2-line block ×6, first 2 shown]
	v_cndmask_b32_e32 v25, v38, v34, vcc
	v_cndmask_b32_e32 v2, v42, v36, vcc
	;; [unrolled: 1-line block ×3, first 2 shown]
	v_cndmask_b32_e64 v26, v2, v25, s[4:5]
	v_cndmask_b32_e64 v2, v29, v2, s[4:5]
	v_cndmask_b32_e32 v29, v36, v32, vcc
	v_cndmask_b32_e64 v25, v25, v29, s[4:5]
	v_sub_u32_e32 v31, 32, v23
	v_cmp_eq_u32_e64 s[8:9], 0, v23
	v_cndmask_b32_e32 v23, v34, v30, vcc
	v_cndmask_b32_e64 v2, v2, v26, s[6:7]
	v_cndmask_b32_e64 v26, v26, v25, s[6:7]
	;; [unrolled: 1-line block ×3, first 2 shown]
	v_alignbit_b32 v33, v2, v26, v31
	v_cndmask_b32_e64 v25, v25, v29, s[6:7]
	v_cndmask_b32_e32 v24, v32, v24, vcc
	v_cndmask_b32_e64 v2, v33, v2, s[8:9]
	v_alignbit_b32 v30, v26, v25, v31
	v_cndmask_b32_e64 v23, v23, v24, s[4:5]
	v_cndmask_b32_e64 v26, v30, v26, s[8:9]
	v_bfe_u32 v34, v2, 29, 1
	v_cndmask_b32_e64 v23, v29, v23, s[6:7]
	v_alignbit_b32 v30, v2, v26, 30
	v_sub_u32_e32 v35, 0, v34
	v_alignbit_b32 v24, v25, v23, v31
	v_xor_b32_e32 v30, v30, v35
	v_cndmask_b32_e64 v24, v24, v25, s[8:9]
	v_alignbit_b32 v25, v26, v24, 30
	v_ffbh_u32_e32 v26, v30
	v_min_u32_e32 v26, 32, v26
	v_alignbit_b32 v23, v24, v23, 30
	v_xor_b32_e32 v25, v25, v35
	v_sub_u32_e32 v29, 31, v26
	v_xor_b32_e32 v23, v23, v35
	v_alignbit_b32 v30, v30, v25, v29
	v_alignbit_b32 v23, v25, v23, v29
	;; [unrolled: 1-line block ×3, first 2 shown]
	v_ffbh_u32_e32 v25, v24
	v_min_u32_e32 v25, 32, v25
	v_lshrrev_b32_e32 v33, 29, v2
	v_not_b32_e32 v29, v25
	v_alignbit_b32 v23, v24, v23, v29
	v_lshlrev_b32_e32 v24, 31, v33
	v_or_b32_e32 v29, 0x33000000, v24
	v_add_lshl_u32 v25, v25, v26, 23
	v_lshrrev_b32_e32 v23, 9, v23
	v_sub_u32_e32 v25, v29, v25
	v_or_b32_e32 v24, 0.5, v24
	v_lshlrev_b32_e32 v26, 23, v26
	v_or_b32_e32 v23, v25, v23
	v_lshrrev_b32_e32 v25, 9, v30
	v_sub_u32_e32 v24, v24, v26
	v_or_b32_e32 v24, v25, v24
	v_mul_f32_e32 v25, 0x3fc90fda, v24
	v_fma_f32 v26, v24, s25, -v25
	v_fmac_f32_e32 v26, 0x33a22168, v24
	v_fmac_f32_e32 v26, 0x3fc90fda, v23
	v_lshrrev_b32_e32 v2, 30, v2
	v_add_f32_e32 v26, v25, v26
	v_add_u32_e32 v25, v34, v2
.LBB7_20:                               ;   in Loop: Header=BB7_2 Depth=1
	s_or_saveexec_b64 s[4:5], s[14:15]
	v_mul_f32_e64 v2, |v21|, s26
	v_rndne_f32_e32 v2, v2
	s_xor_b64 exec, exec, s[4:5]
; %bb.21:                               ;   in Loop: Header=BB7_2 Depth=1
	v_cvt_i32_f32_e32 v25, v2
	v_fma_f32 v26, v2, s27, |v21|
	v_fmac_f32_e32 v26, 0xb3a22168, v2
	v_fmac_f32_e32 v26, 0xa7c234c4, v2
; %bb.22:                               ;   in Loop: Header=BB7_2 Depth=1
	s_or_b64 exec, exec, s[4:5]
                                        ; implicit-def: $vgpr23
                                        ; implicit-def: $vgpr24
	s_and_saveexec_b64 s[4:5], s[12:13]
	s_xor_b64 s[12:13], exec, s[4:5]
	s_cbranch_execz .LBB7_24
; %bb.23:                               ;   in Loop: Header=BB7_2 Depth=1
	v_cmp_lt_u32_e32 vcc, 63, v28
	s_nop 1
	v_cndmask_b32_e32 v2, 0, v7, vcc
	v_add_u32_e32 v2, v2, v28
	v_cmp_lt_u32_e64 s[4:5], 31, v2
	v_mad_u64_u32 v[28:29], s[8:9], v27, s18, 0
	s_nop 0
	v_cndmask_b32_e64 v23, 0, v8, s[4:5]
	v_add_u32_e32 v2, v23, v2
	v_cmp_lt_u32_e64 s[6:7], 31, v2
	s_nop 1
	v_cndmask_b32_e64 v23, 0, v8, s[6:7]
	v_add_u32_e32 v23, v23, v2
	v_mov_b32_e32 v2, v29
	v_mad_u64_u32 v[30:31], s[8:9], v27, s19, v[2:3]
	v_mov_b32_e32 v2, v31
	v_mad_u64_u32 v[32:33], s[8:9], v27, s20, v[2:3]
	;; [unrolled: 2-line block ×6, first 2 shown]
	v_cndmask_b32_e32 v24, v38, v34, vcc
	v_cndmask_b32_e32 v2, v42, v36, vcc
	;; [unrolled: 1-line block ×3, first 2 shown]
	v_cndmask_b32_e64 v27, v2, v24, s[4:5]
	v_cndmask_b32_e64 v2, v29, v2, s[4:5]
	v_cndmask_b32_e32 v29, v36, v32, vcc
	v_cndmask_b32_e64 v24, v24, v29, s[4:5]
	v_sub_u32_e32 v31, 32, v23
	v_cmp_eq_u32_e64 s[8:9], 0, v23
	v_cndmask_b32_e32 v23, v34, v30, vcc
	v_cndmask_b32_e64 v2, v2, v27, s[6:7]
	v_cndmask_b32_e64 v27, v27, v24, s[6:7]
	v_cndmask_b32_e64 v29, v29, v23, s[4:5]
	v_alignbit_b32 v33, v2, v27, v31
	v_cndmask_b32_e64 v24, v24, v29, s[6:7]
	v_cndmask_b32_e64 v2, v33, v2, s[8:9]
	v_alignbit_b32 v30, v27, v24, v31
	v_cndmask_b32_e32 v28, v32, v28, vcc
	v_cndmask_b32_e64 v27, v30, v27, s[8:9]
	v_bfe_u32 v34, v2, 29, 1
	v_cndmask_b32_e64 v23, v23, v28, s[4:5]
	v_alignbit_b32 v30, v2, v27, 30
	v_sub_u32_e32 v35, 0, v34
	v_cndmask_b32_e64 v23, v29, v23, s[6:7]
	v_xor_b32_e32 v30, v30, v35
	v_alignbit_b32 v28, v24, v23, v31
	v_cndmask_b32_e64 v24, v28, v24, s[8:9]
	v_ffbh_u32_e32 v28, v30
	v_alignbit_b32 v27, v27, v24, 30
	v_min_u32_e32 v28, 32, v28
	v_alignbit_b32 v23, v24, v23, 30
	v_xor_b32_e32 v27, v27, v35
	v_sub_u32_e32 v29, 31, v28
	v_xor_b32_e32 v23, v23, v35
	v_alignbit_b32 v30, v30, v27, v29
	v_alignbit_b32 v23, v27, v23, v29
	;; [unrolled: 1-line block ×3, first 2 shown]
	v_ffbh_u32_e32 v27, v24
	v_min_u32_e32 v27, 32, v27
	v_lshrrev_b32_e32 v33, 29, v2
	v_not_b32_e32 v29, v27
	v_alignbit_b32 v23, v24, v23, v29
	v_lshlrev_b32_e32 v24, 31, v33
	v_or_b32_e32 v29, 0x33000000, v24
	v_add_lshl_u32 v27, v27, v28, 23
	v_lshrrev_b32_e32 v23, 9, v23
	v_sub_u32_e32 v27, v29, v27
	v_or_b32_e32 v24, 0.5, v24
	v_lshlrev_b32_e32 v28, 23, v28
	v_or_b32_e32 v23, v27, v23
	v_lshrrev_b32_e32 v27, 9, v30
	v_sub_u32_e32 v24, v24, v28
	v_or_b32_e32 v24, v27, v24
	v_mul_f32_e32 v27, 0x3fc90fda, v24
	v_fma_f32 v28, v24, s25, -v27
	v_fmac_f32_e32 v28, 0x33a22168, v24
	v_fmac_f32_e32 v28, 0x3fc90fda, v23
	v_lshrrev_b32_e32 v2, 30, v2
	v_add_f32_e32 v24, v27, v28
	v_add_u32_e32 v23, v34, v2
                                        ; implicit-def: $vgpr2
	s_andn2_saveexec_b64 s[4:5], s[12:13]
	s_cbranch_execz .LBB7_1
	s_branch .LBB7_25
.LBB7_24:                               ;   in Loop: Header=BB7_2 Depth=1
	s_andn2_saveexec_b64 s[4:5], s[12:13]
	s_cbranch_execz .LBB7_1
.LBB7_25:                               ;   in Loop: Header=BB7_2 Depth=1
	v_cvt_i32_f32_e32 v23, v2
	v_fma_f32 v24, v2, s27, |v21|
	v_fmac_f32_e32 v24, 0xb3a22168, v2
	v_fmac_f32_e32 v24, 0xa7c234c4, v2
	s_branch .LBB7_1
.LBB7_26:
	s_load_dwordx2 s[4:5], s[0:1], 0x0
	s_load_dwordx4 s[28:31], s[0:1], 0x48
	s_mov_b32 s35, 0
	v_mov_b32_e32 v26, 0
	s_movk_i32 s45, 0x46
	s_waitcnt lgkmcnt(0)
	s_max_i32 s41, s5, 1
	s_max_i32 s44, s4, 1
	s_movk_i32 s46, 0x45
	s_mov_b32 s47, 0xf800000
	v_mov_b32_e32 v27, 0x260
	s_mov_b32 s40, 0x42340000
	v_mov_b32_e32 v28, 0x40b00000
	v_mov_b32_e32 v29, 0xff7fffff
	;; [unrolled: 1-line block ×4, first 2 shown]
	s_mov_b32 s42, s35
.LBB7_27:                               ; =>This Loop Header: Depth=1
                                        ;     Child Loop BB7_28 Depth 2
                                        ;     Child Loop BB7_30 Depth 2
                                        ;       Child Loop BB7_31 Depth 3
	s_mov_b32 s43, s35
	s_lshl_b64 s[0:1], s[42:43], 4
	s_add_u32 s0, s38, s0
	s_addc_u32 s1, s39, s1
	global_load_dwordx4 v[4:7], v26, s[0:1]
	s_movk_i32 s0, 0x1a10
	s_mov_b32 s1, s35
	s_waitcnt vmcnt(0)
	v_ashrrev_i32_e32 v1, 31, v7
	v_mov_b32_e32 v0, v7
	v_lshlrev_b64 v[0:1], 4, v[0:1]
	v_lshl_add_u64 v[0:1], s[30:31], 0, v[0:1]
	global_load_dwordx4 v[0:3], v[0:1], off
	v_mov_b32_e32 v16, v4
	v_mov_b32_e32 v17, v4
	;; [unrolled: 1-line block ×4, first 2 shown]
.LBB7_28:                               ;   Parent Loop BB7_27 Depth=1
                                        ; =>  This Inner Loop Header: Depth=2
	s_add_i32 s4, s1, 0x210
	scratch_load_dwordx4 v[8:11], off, s4
	s_add_i32 s5, s4, 48
	s_add_i32 s6, s4, 16
	;; [unrolled: 1-line block ×8, first 2 shown]
	scratch_load_dwordx4 v[18:21], off, s5
	scratch_load_dwordx4 v[12:15], off, s6
	;; [unrolled: 1-line block ×8, first 2 shown]
	s_add_i32 s13, s4, 0xa0
	s_add_i32 s14, s4, 0x80
	s_addk_i32 s4, 0xb0
	s_add_i32 s5, s0, 32
	s_addk_i32 s1, 0xc0
	s_waitcnt vmcnt(8)
	v_mov_b32_e32 v54, v11
	v_mov_b32_e32 v56, v8
	s_waitcnt vmcnt(7)
	v_mov_b32_e32 v55, v21
	v_mov_b32_e32 v57, v18
	s_waitcnt vmcnt(6)
	v_mov_b32_e32 v58, v15
	s_waitcnt vmcnt(5)
	v_mov_b32_e32 v59, v25
	v_mov_b32_e32 v60, v12
	;; [unrolled: 1-line block ×3, first 2 shown]
	s_waitcnt vmcnt(4)
	v_mov_b32_e32 v62, v35
	s_waitcnt vmcnt(3)
	v_mov_b32_e32 v63, v39
	v_pk_fma_f32 v[64:65], v[16:17], v[56:57], v[54:55]
	v_mov_b32_e32 v54, v32
	v_mov_b32_e32 v55, v36
	v_pk_fma_f32 v[58:59], v[16:17], v[60:61], v[58:59]
	v_pk_fma_f32 v[60:61], v[16:17], v[54:55], v[62:63]
	scratch_load_dwordx4 v[54:57], off, s13
	v_mov_b32_e32 v18, v9
	v_mov_b32_e32 v22, v13
	;; [unrolled: 1-line block ×3, first 2 shown]
	v_pk_fma_f32 v[8:9], v[4:5], v[18:19], v[64:65]
	scratch_load_dwordx4 v[18:21], off, s14
	v_mov_b32_e32 v15, v24
	v_pk_fma_f32 v[12:13], v[4:5], v[22:23], v[58:59]
	scratch_load_dwordx4 v[22:25], off, s4
	v_mov_b32_e32 v36, v33
	v_mov_b32_e32 v35, v38
	v_pk_fma_f32 v[32:33], v[4:5], v[36:37], v[60:61]
	s_waitcnt vmcnt(5)
	v_mov_b32_e32 v36, v45
	s_waitcnt vmcnt(4)
	v_mov_b32_e32 v37, v49
	v_mov_b32_e32 v38, v42
	;; [unrolled: 1-line block ×4, first 2 shown]
	v_pk_fma_f32 v[36:37], v[16:17], v[38:39], v[36:37]
	s_waitcnt vmcnt(3)
	v_mov_b32_e32 v38, v53
	v_mov_b32_e32 v42, v50
	v_pk_fma_f32 v[36:37], v[4:5], v[46:47], v[36:37]
	v_mov_b32_e32 v45, v48
	v_pk_fma_f32 v[10:11], v[6:7], v[10:11], v[8:9]
	v_pk_fma_f32 v[14:15], v[6:7], v[14:15], v[12:13]
	;; [unrolled: 1-line block ×3, first 2 shown]
	v_mov_b32_e32 v8, v10
	v_mov_b32_e32 v9, v14
	;; [unrolled: 1-line block ×3, first 2 shown]
	s_add_i32 s4, s0, 16
	v_mov_b32_e32 v12, v15
	s_waitcnt vmcnt(2)
	v_mov_b32_e32 v39, v57
	v_mov_b32_e32 v43, v54
	;; [unrolled: 1-line block ×3, first 2 shown]
	v_pk_fma_f32 v[38:39], v[16:17], v[42:43], v[38:39]
	v_mov_b32_e32 v53, v56
	s_waitcnt vmcnt(1)
	v_mov_b32_e32 v46, v21
	v_mov_b32_e32 v42, v18
	s_waitcnt vmcnt(0)
	v_mov_b32_e32 v47, v25
	v_mov_b32_e32 v43, v22
	;; [unrolled: 1-line block ×4, first 2 shown]
	v_pk_fma_f32 v[18:19], v[16:17], v[42:43], v[46:47]
	v_pk_fma_f32 v[24:25], v[4:5], v[54:55], v[38:39]
	;; [unrolled: 1-line block ×6, first 2 shown]
	v_mov_b32_e32 v14, v18
	v_mov_b32_e32 v15, v24
	scratch_store_dwordx4 off, v[8:11], s0
	scratch_store_dwordx4 off, v[12:15], s4
	s_add_i32 s0, s0, 48
	v_mov_b32_e32 v18, v20
	v_mov_b32_e32 v20, v25
	s_cmpk_lg_i32 s1, 0x1800
	scratch_store_dwordx4 off, v[18:21], s5
	s_cbranch_scc1 .LBB7_28
; %bb.29:                               ;   in Loop: Header=BB7_27 Depth=1
	v_cmp_gt_f32_e64 s[8:9], 0, v2
	v_cmp_lt_f32_e64 s[0:1], 0, v2
	v_cmp_eq_u32_e64 s[4:5], s45, v0
	v_cmp_eq_u32_e64 s[6:7], s46, v0
	v_cndmask_b32_e64 v0, 1.0, v28, s[8:9]
	v_cndmask_b32_e64 v32, v29, 1.0, s[8:9]
	s_mov_b32 s34, 0
.LBB7_30:                               ;   Parent Loop BB7_27 Depth=1
                                        ; =>  This Loop Header: Depth=2
                                        ;       Child Loop BB7_31 Depth 3
	s_lshl_b64 s[10:11], s[34:35], 4
	s_add_u32 s10, s36, s10
	s_addc_u32 s11, s37, s11
	global_load_dwordx4 v[4:7], v26, s[10:11]
	s_mov_b32 s43, 16
	s_mov_b32 s48, 0
	s_waitcnt vmcnt(0)
	v_ashrrev_i32_e32 v9, 31, v7
	v_mov_b32_e32 v8, v7
	v_lshlrev_b64 v[8:9], 4, v[8:9]
	v_lshl_add_u64 v[8:9], s[30:31], 0, v[8:9]
	global_load_dwordx4 v[8:11], v[8:9], off
	v_mov_b32_e32 v12, v4
	v_mov_b32_e32 v13, v4
	;; [unrolled: 1-line block ×4, first 2 shown]
	s_waitcnt vmcnt(0)
	v_cmp_lt_f32_e64 s[14:15], 0, v10
	v_cmp_gt_f32_e64 s[16:17], 0, v10
	s_and_b64 s[14:15], s[14:15], s[8:9]
	v_cmp_eq_u32_e32 vcc, s46, v8
	v_cndmask_b32_e64 v33, v32, v0, s[16:17]
	s_and_b64 s[16:17], s[16:17], s[0:1]
	v_cmp_neq_f32_e64 s[10:11], 0, v10
	v_cmp_eq_u32_e64 s[18:19], s45, v8
	v_add_f32_e32 v16, v1, v9
	v_cndmask_b32_e64 v8, v10, -v10, s[16:17]
	v_cndmask_b32_e64 v9, v2, -v2, s[14:15]
	v_div_scale_f32 v10, s[14:15], v33, v33, 1.0
	v_div_scale_f32 v22, s[16:17], v16, v16, 1.0
	v_add_f32_e32 v20, v8, v9
	v_rcp_f32_e32 v8, v10
	v_rcp_f32_e32 v9, v22
	v_mul_f32_e32 v14, v3, v11
	s_or_b64 s[12:13], vcc, s[6:7]
	v_fma_f32 v24, -v10, v8, 1.0
	v_div_scale_f32 v11, vcc, 1.0, v33, 1.0
	v_fma_f32 v25, -v22, v9, 1.0
	v_fmac_f32_e32 v8, v24, v8
	v_div_scale_f32 v23, s[16:17], 1.0, v16, 1.0
	v_fmac_f32_e32 v9, v25, v9
	v_mul_f32_e32 v24, v11, v8
	v_mul_f32_e32 v25, v23, v9
	v_fma_f32 v35, -v10, v24, v11
	v_fma_f32 v36, -v22, v25, v23
	v_fmac_f32_e32 v24, v35, v8
	v_fmac_f32_e32 v25, v36, v9
	v_fma_f32 v10, -v10, v24, v11
	v_fma_f32 v11, -v22, v25, v23
	v_div_fmas_f32 v8, v10, v8, v24
	s_mov_b64 vcc, s[16:17]
	s_and_b64 s[14:15], s[18:19], s[4:5]
	v_div_fixup_f32 v22, v8, v33, 1.0
	v_div_fmas_f32 v8, v11, v9, v25
	v_cndmask_b32_e64 v18, 0.5, v30, s[14:15]
	v_div_fixup_f32 v24, v8, v16, 1.0
	v_mov_b32_e32 v17, v16
	v_mov_b32_e32 v15, v14
	v_cndmask_b32_e64 v34, 2.0, 4.0, s[14:15]
	v_mov_b32_e32 v19, v18
	v_mov_b32_e32 v21, v20
	;; [unrolled: 1-line block ×4, first 2 shown]
.LBB7_31:                               ;   Parent Loop BB7_27 Depth=1
                                        ;     Parent Loop BB7_30 Depth=2
                                        ; =>    This Inner Loop Header: Depth=3
	s_add_i32 s14, s48, 0x1a10
	scratch_load_dwordx4 v[36:39], off, s14
	s_add_i32 s15, s14, 16
	scratch_load_dwordx4 v[8:11], off, s43
	s_add_i32 s14, s14, 32
	scratch_load_dwordx4 v[42:45], off, s15
	scratch_load_dwordx4 v[46:49], off, s14
	s_add_i32 s48, s48, 48
	s_waitcnt vmcnt(3)
	v_mov_b32_e32 v50, v36
	v_mov_b32_e32 v36, v37
	;; [unrolled: 1-line block ×3, first 2 shown]
	s_waitcnt vmcnt(1)
	v_mov_b32_e32 v37, v42
	v_pk_add_f32 v[36:37], v[36:37], v[4:5] neg_lo:[0,1] neg_hi:[0,1]
	v_pk_add_f32 v[50:51], v[50:51], v[12:13] neg_lo:[0,1] neg_hi:[0,1]
	v_mov_b32_e32 v39, v43
	v_mov_b32_e32 v42, v44
	;; [unrolled: 1-line block ×3, first 2 shown]
	s_waitcnt vmcnt(0)
	v_mov_b32_e32 v45, v48
	v_pk_mul_f32 v[36:37], v[36:37], v[36:37]
	v_mov_b32_e32 v43, v47
	v_pk_add_f32 v[38:39], v[38:39], v[6:7] neg_lo:[0,1] neg_hi:[0,1]
	v_pk_add_f32 v[44:45], v[44:45], v[4:5] neg_lo:[0,1] neg_hi:[0,1]
	v_pk_fma_f32 v[36:37], v[50:51], v[50:51], v[36:37]
	v_mov_b32_e32 v47, v49
	v_pk_add_f32 v[42:43], v[42:43], v[12:13] neg_lo:[0,1] neg_hi:[0,1]
	v_pk_mul_f32 v[44:45], v[44:45], v[44:45]
	v_pk_fma_f32 v[36:37], v[38:39], v[38:39], v[36:37]
	v_pk_add_f32 v[46:47], v[46:47], v[6:7] neg_lo:[0,1] neg_hi:[0,1]
	v_pk_fma_f32 v[42:43], v[42:43], v[42:43], v[44:45]
	v_mul_f32_e32 v35, 0x4f800000, v37
	v_cmp_gt_f32_e64 s[18:19], s47, v37
	v_pk_fma_f32 v[38:39], v[46:47], v[46:47], v[42:43]
	v_mul_f32_e32 v41, 0x4f800000, v36
	v_cmp_gt_f32_e32 vcc, s47, v36
	v_cndmask_b32_e64 v35, v37, v35, s[18:19]
	v_mul_f32_e32 v42, 0x4f800000, v39
	v_cmp_gt_f32_e64 s[14:15], s47, v39
	v_mul_f32_e32 v43, 0x4f800000, v38
	v_cmp_gt_f32_e64 s[16:17], s47, v38
	v_cndmask_b32_e32 v36, v36, v41, vcc
	v_sqrt_f32_e32 v37, v35
	v_cndmask_b32_e64 v39, v39, v42, s[14:15]
	v_cndmask_b32_e64 v38, v38, v43, s[16:17]
	v_sqrt_f32_e32 v41, v36
	v_sqrt_f32_e32 v42, v39
	;; [unrolled: 1-line block ×3, first 2 shown]
	v_add_u32_e32 v44, -1, v37
	v_add_u32_e32 v46, -1, v41
	v_fma_f32 v52, -v44, v37, v35
	v_add_u32_e32 v45, 1, v37
	v_add_u32_e32 v47, 1, v41
	v_add_u32_e32 v48, -1, v42
	v_add_u32_e32 v50, -1, v43
	v_fma_f32 v54, -v46, v41, v36
	v_cmp_ge_f32_e64 s[20:21], 0, v52
	v_add_u32_e32 v49, 1, v42
	v_add_u32_e32 v51, 1, v43
	v_fma_f32 v53, -v45, v37, v35
	v_fma_f32 v55, -v47, v41, v36
	;; [unrolled: 1-line block ×4, first 2 shown]
	v_cndmask_b32_e64 v37, v37, v44, s[20:21]
	v_cmp_ge_f32_e64 s[20:21], 0, v54
	v_fma_f32 v57, -v49, v42, v39
	v_fma_f32 v59, -v51, v43, v38
	v_cndmask_b32_e64 v41, v41, v46, s[20:21]
	v_cmp_lt_f32_e64 s[20:21], 0, v55
	v_cmp_ge_f32_e64 s[22:23], 0, v56
	v_cmp_ge_f32_e64 s[24:25], 0, v58
	v_cmp_lt_f32_e64 s[26:27], 0, v53
	v_cndmask_b32_e64 v42, v42, v48, s[22:23]
	v_cmp_lt_f32_e64 s[22:23], 0, v57
	v_cndmask_b32_e64 v43, v43, v50, s[24:25]
	;; [unrolled: 2-line block ×3, first 2 shown]
	v_cndmask_b32_e64 v41, v41, v47, s[20:21]
	v_cndmask_b32_e64 v42, v42, v49, s[22:23]
	;; [unrolled: 1-line block ×3, first 2 shown]
	v_mul_f32_e32 v44, 0x37800000, v37
	v_mul_f32_e32 v45, 0x37800000, v41
	;; [unrolled: 1-line block ×4, first 2 shown]
	v_cndmask_b32_e64 v37, v37, v44, s[18:19]
	v_cndmask_b32_e32 v41, v41, v45, vcc
	v_cmp_class_f32_e32 vcc, v36, v27
	v_cmp_class_f32_e64 s[18:19], v35, v27
	v_cndmask_b32_e64 v42, v42, v46, s[14:15]
	v_cmp_class_f32_e64 s[14:15], v39, v27
	v_cndmask_b32_e64 v43, v43, v47, s[16:17]
	v_cmp_class_f32_e64 s[16:17], v38, v27
	v_cndmask_b32_e64 v37, v37, v35, s[18:19]
	v_cndmask_b32_e32 v36, v41, v36, vcc
	v_cndmask_b32_e64 v39, v42, v39, s[14:15]
	v_cndmask_b32_e64 v38, v43, v38, s[16:17]
	v_pk_add_f32 v[42:43], v[36:37], v[16:17] neg_lo:[0,1] neg_hi:[0,1]
	v_pk_add_f32 v[44:45], v[38:39], v[16:17] neg_lo:[0,1] neg_hi:[0,1]
	v_cmp_lt_f32_e64 s[16:17], v43, v34
	v_cmp_gt_f32_e32 vcc, 0, v43
	v_cmp_gt_f32_e64 s[14:15], 0, v42
	v_cndmask_b32_e64 v51, 0, 1.0, s[16:17]
	v_cmp_lt_f32_e64 s[16:17], v42, v34
	v_cmp_gt_f32_e64 s[20:21], 0, v45
	v_cmp_gt_f32_e64 s[22:23], 0, v44
	v_cmp_lt_f32_e64 s[24:25], v45, v34
	v_pk_fma_f32 v[36:37], v[24:25], v[36:37], 1.0 op_sel_hi:[1,1,0] neg_lo:[1,0,0] neg_hi:[1,0,0]
	v_pk_fma_f32 v[38:39], v[24:25], v[38:39], 1.0 op_sel_hi:[1,1,0] neg_lo:[1,0,0] neg_hi:[1,0,0]
	v_cndmask_b32_e32 v47, 0, v31, vcc
	v_cndmask_b32_e64 v46, 0, v31, s[14:15]
	v_pk_fma_f32 v[48:49], v[18:19], v[42:43], 1.0 op_sel_hi:[1,1,0] neg_lo:[1,0,0] neg_hi:[1,0,0]
	v_cndmask_b32_e64 v50, 0, 1.0, s[16:17]
	v_pk_fma_f32 v[52:53], v[22:23], v[42:43], 1.0 op_sel_hi:[1,1,0] neg_lo:[1,0,0] neg_hi:[1,0,0]
	v_cmp_lt_f32_e64 s[16:17], v43, v33
	v_cmp_lt_f32_e64 s[18:19], v42, v33
	v_cndmask_b32_e64 v43, 0, v31, s[20:21]
	v_cndmask_b32_e64 v42, 0, v31, s[22:23]
	v_pk_fma_f32 v[54:55], v[18:19], v[44:45], 1.0 op_sel_hi:[1,1,0] neg_lo:[1,0,0] neg_hi:[1,0,0]
	v_cndmask_b32_e64 v57, 0, 1.0, s[24:25]
	v_cmp_lt_f32_e64 s[24:25], v44, v34
	v_pk_fma_f32 v[8:9], v[36:37], v[46:47], v[8:9]
	v_cndmask_b32_e64 v37, v49, 1.0, vcc
	v_cndmask_b32_e64 v56, 0, 1.0, s[24:25]
	v_cndmask_b32_e64 v36, v48, 1.0, s[14:15]
	v_pk_fma_f32 v[10:11], v[38:39], v[42:43], v[10:11]
	v_cndmask_b32_e64 v39, v55, 1.0, s[20:21]
	v_cndmask_b32_e64 v38, v54, 1.0, s[22:23]
	v_pk_mul_f32 v[36:37], v[50:51], v[36:37]
	v_pk_mul_f32 v[38:39], v[56:57], v[38:39]
	v_cmp_lt_f32_e64 s[24:25], v45, v33
	v_pk_mul_f32 v[36:37], v[14:15], v[36:37]
	v_pk_mul_f32 v[38:39], v[14:15], v[38:39]
	v_cmp_lt_f32_e64 s[26:27], v44, v33
	s_and_b64 s[16:17], s[10:11], s[16:17]
	v_cndmask_b32_e64 v47, v53, 1.0, vcc
	v_cndmask_b32_e64 v46, v52, 1.0, s[14:15]
	s_and_b64 s[14:15], s[10:11], s[24:25]
	v_and_b32_e32 v51, 0x7fffffff, v37
	v_and_b32_e32 v50, 0x7fffffff, v36
	;; [unrolled: 1-line block ×4, first 2 shown]
	v_pk_fma_f32 v[58:59], v[22:23], v[44:45], 1.0 op_sel_hi:[1,1,0] neg_lo:[1,0,0] neg_hi:[1,0,0]
	v_cndmask_b32_e64 v45, 0, 1.0, s[16:17]
	s_and_b64 s[16:17], s[10:11], s[18:19]
	v_cndmask_b32_e64 v43, 0, 1.0, s[14:15]
	s_and_b64 s[14:15], s[10:11], s[26:27]
	v_pk_add_f32 v[50:51], v[50:51], 0 neg_lo:[1,1] neg_hi:[1,1]
	v_pk_add_f32 v[52:53], v[52:53], 0 neg_lo:[1,1] neg_hi:[1,1]
	v_cndmask_b32_e64 v44, 0, 1.0, s[16:17]
	v_cndmask_b32_e64 v42, 0, 1.0, s[14:15]
	v_cndmask_b32_e64 v37, v37, v51, s[12:13]
	v_cndmask_b32_e64 v36, v36, v50, s[12:13]
	;; [unrolled: 1-line block ×4, first 2 shown]
	v_cndmask_b32_e64 v49, v59, 1.0, s[20:21]
	v_cndmask_b32_e64 v48, v58, 1.0, s[22:23]
	v_pk_mul_f32 v[44:45], v[20:21], v[44:45]
	v_pk_mul_f32 v[42:43], v[20:21], v[42:43]
	v_pk_fma_f32 v[8:9], v[36:37], s[40:41], v[8:9] op_sel_hi:[1,0,1]
	v_pk_fma_f32 v[10:11], v[38:39], s[40:41], v[10:11] op_sel_hi:[1,0,1]
	v_pk_fma_f32 v[8:9], v[46:47], v[44:45], v[8:9]
	v_pk_fma_f32 v[10:11], v[48:49], v[42:43], v[10:11]
	scratch_store_dwordx4 off, v[8:11], s43
	s_add_i32 s43, s43, 16
	s_cmpk_lg_i32 s48, 0x600
	s_cbranch_scc1 .LBB7_31
; %bb.32:                               ;   in Loop: Header=BB7_30 Depth=2
	s_add_i32 s34, s34, 1
	s_cmp_lg_u32 s34, s41
	s_cbranch_scc1 .LBB7_30
; %bb.33:                               ;   in Loop: Header=BB7_27 Depth=1
	s_add_i32 s42, s42, 1
	s_cmp_lg_u32 s42, s44
	s_cbranch_scc1 .LBB7_27
; %bb.34:
	s_and_saveexec_b64 s[0:1], s[2:3]
	s_cbranch_execz .LBB7_36
; %bb.35:
	scratch_load_dwordx4 v[16:19], off, off offset:16
	scratch_load_dwordx4 v[24:27], off, off offset:32
	;; [unrolled: 1-line block ×10, first 2 shown]
	v_mov_b32_e32 v41, 0
	v_lshl_add_u64 v[42:43], v[40:41], 2, s[28:29]
	v_add_u32_e32 v40, s33, v40
	v_lshl_add_u64 v[44:45], v[40:41], 2, s[28:29]
	v_add_u32_e32 v40, s33, v40
	v_lshl_add_u64 v[46:47], v[40:41], 2, s[28:29]
	v_add_u32_e32 v40, s33, v40
	v_lshl_add_u64 v[48:49], v[40:41], 2, s[28:29]
	v_add_u32_e32 v40, s33, v40
	s_waitcnt vmcnt(9)
	v_mul_f32_e32 v50, 0.5, v16
	v_mul_f32_e32 v51, 0.5, v17
	v_lshl_add_u64 v[16:17], v[40:41], 2, s[28:29]
	v_add_u32_e32 v40, s33, v40
	v_mul_f32_e32 v52, 0.5, v18
	v_mul_f32_e32 v53, 0.5, v19
	v_lshl_add_u64 v[18:19], v[40:41], 2, s[28:29]
	v_add_u32_e32 v40, s33, v40
	s_waitcnt vmcnt(8)
	v_mul_f32_e32 v54, 0.5, v24
	v_mul_f32_e32 v55, 0.5, v25
	v_lshl_add_u64 v[24:25], v[40:41], 2, s[28:29]
	v_add_u32_e32 v40, s33, v40
	v_mul_f32_e32 v56, 0.5, v26
	v_mul_f32_e32 v57, 0.5, v27
	v_lshl_add_u64 v[26:27], v[40:41], 2, s[28:29]
	v_add_u32_e32 v40, s33, v40
	;; [unrolled: 9-line block ×3, first 2 shown]
	s_waitcnt vmcnt(6)
	v_mul_f32_e32 v62, 0.5, v36
	v_mul_f32_e32 v63, 0.5, v37
	v_lshl_add_u64 v[36:37], v[40:41], 2, s[28:29]
	v_add_u32_e32 v40, s33, v40
	global_store_dword v[42:43], v50, off
	global_store_dword v[44:45], v51, off
	global_store_dword v[46:47], v52, off
	global_store_dword v[48:49], v53, off
	global_store_dword v[16:17], v54, off
	v_lshl_add_u64 v[16:17], v[40:41], 2, s[28:29]
	v_add_u32_e32 v40, s33, v40
	v_mul_f32_e32 v64, 0.5, v38
	v_mul_f32_e32 v65, 0.5, v39
	v_lshl_add_u64 v[38:39], v[40:41], 2, s[28:29]
	v_add_u32_e32 v40, s33, v40
	global_store_dword v[18:19], v55, off
	v_lshl_add_u64 v[18:19], v[40:41], 2, s[28:29]
	v_add_u32_e32 v40, s33, v40
	global_store_dword v[24:25], v56, off
	v_lshl_add_u64 v[24:25], v[40:41], 2, s[28:29]
	v_add_u32_e32 v40, s33, v40
	v_lshl_add_u64 v[42:43], v[40:41], 2, s[28:29]
	v_add_u32_e32 v40, s33, v40
	global_store_dword v[26:27], v57, off
	v_lshl_add_u64 v[26:27], v[40:41], 2, s[28:29]
	v_add_u32_e32 v40, s33, v40
	global_store_dword v[32:33], v58, off
	v_lshl_add_u64 v[32:33], v[40:41], 2, s[28:29]
	v_add_u32_e32 v40, s33, v40
	s_waitcnt vmcnt(14)
	v_mul_f32_e32 v28, 0.5, v28
	v_mul_f32_e32 v29, 0.5, v29
	global_store_dword v[34:35], v59, off
	global_store_dword v[36:37], v60, off
	;; [unrolled: 1-line block ×9, first 2 shown]
	v_mul_f32_e32 v18, 0.5, v30
	v_lshl_add_u64 v[16:17], v[40:41], 2, s[28:29]
	v_add_u32_e32 v40, s33, v40
	global_store_dword v[16:17], v18, off
	v_mul_f32_e32 v18, 0.5, v31
	v_lshl_add_u64 v[16:17], v[40:41], 2, s[28:29]
	v_add_u32_e32 v40, s33, v40
	global_store_dword v[16:17], v18, off
	s_waitcnt vmcnt(24)
	v_mul_f32_e32 v18, 0.5, v20
	v_lshl_add_u64 v[16:17], v[40:41], 2, s[28:29]
	global_store_dword v[16:17], v18, off
	scratch_load_dwordx4 v[16:19], off, off offset:176
	v_add_u32_e32 v40, s33, v40
	v_mul_f32_e32 v24, 0.5, v21
	v_lshl_add_u64 v[20:21], v[40:41], 2, s[28:29]
	v_add_u32_e32 v40, s33, v40
	global_store_dword v[20:21], v24, off
	v_mul_f32_e32 v22, 0.5, v22
	v_lshl_add_u64 v[20:21], v[40:41], 2, s[28:29]
	v_add_u32_e32 v40, s33, v40
	global_store_dword v[20:21], v22, off
	;; [unrolled: 4-line block ×3, first 2 shown]
	s_waitcnt vmcnt(28)
	v_mul_f32_e32 v12, 0.5, v12
	v_lshl_add_u64 v[20:21], v[40:41], 2, s[28:29]
	v_add_u32_e32 v40, s33, v40
	global_store_dword v[20:21], v12, off
	v_mul_f32_e32 v24, 0.5, v13
	scratch_load_dwordx4 v[20:23], off, off offset:192
	v_lshl_add_u64 v[12:13], v[40:41], 2, s[28:29]
	v_add_u32_e32 v40, s33, v40
	global_store_dword v[12:13], v24, off
	v_mul_f32_e32 v14, 0.5, v14
	v_lshl_add_u64 v[12:13], v[40:41], 2, s[28:29]
	v_add_u32_e32 v40, s33, v40
	global_store_dword v[12:13], v14, off
	v_mul_f32_e32 v14, 0.5, v15
	v_lshl_add_u64 v[12:13], v[40:41], 2, s[28:29]
	v_add_u32_e32 v40, s33, v40
	global_store_dword v[12:13], v14, off
	s_waitcnt vmcnt(32)
	v_mul_f32_e32 v8, 0.5, v8
	v_lshl_add_u64 v[12:13], v[40:41], 2, s[28:29]
	v_add_u32_e32 v40, s33, v40
	global_store_dword v[12:13], v8, off
	v_mul_f32_e32 v24, 0.5, v9
	scratch_load_dwordx4 v[12:15], off, off offset:208
	v_lshl_add_u64 v[8:9], v[40:41], 2, s[28:29]
	v_add_u32_e32 v40, s33, v40
	global_store_dword v[8:9], v24, off
	v_mul_f32_e32 v10, 0.5, v10
	v_lshl_add_u64 v[8:9], v[40:41], 2, s[28:29]
	v_add_u32_e32 v40, s33, v40
	global_store_dword v[8:9], v10, off
	v_mul_f32_e32 v10, 0.5, v11
	v_lshl_add_u64 v[8:9], v[40:41], 2, s[28:29]
	v_add_u32_e32 v40, s33, v40
	global_store_dword v[8:9], v10, off
	s_waitcnt vmcnt(36)
	v_mul_f32_e32 v4, 0.5, v4
	v_lshl_add_u64 v[8:9], v[40:41], 2, s[28:29]
	global_store_dword v[8:9], v4, off
	scratch_load_dwordx4 v[8:11], off, off offset:224
	v_add_u32_e32 v40, s33, v40
	v_mul_f32_e32 v24, 0.5, v5
	v_lshl_add_u64 v[4:5], v[40:41], 2, s[28:29]
	v_add_u32_e32 v40, s33, v40
	global_store_dword v[4:5], v24, off
	v_mul_f32_e32 v6, 0.5, v6
	v_lshl_add_u64 v[4:5], v[40:41], 2, s[28:29]
	v_add_u32_e32 v40, s33, v40
	global_store_dword v[4:5], v6, off
	;; [unrolled: 4-line block ×3, first 2 shown]
	s_waitcnt vmcnt(40)
	v_mul_f32_e32 v0, 0.5, v0
	v_lshl_add_u64 v[4:5], v[40:41], 2, s[28:29]
	v_add_u32_e32 v40, s33, v40
	global_store_dword v[4:5], v0, off
	v_mul_f32_e32 v24, 0.5, v1
	scratch_load_dwordx4 v[4:7], off, off offset:240
	v_lshl_add_u64 v[0:1], v[40:41], 2, s[28:29]
	v_add_u32_e32 v40, s33, v40
	global_store_dword v[0:1], v24, off
	v_mul_f32_e32 v2, 0.5, v2
	v_lshl_add_u64 v[0:1], v[40:41], 2, s[28:29]
	v_add_u32_e32 v40, s33, v40
	global_store_dword v[0:1], v2, off
	v_mul_f32_e32 v2, 0.5, v3
	v_lshl_add_u64 v[0:1], v[40:41], 2, s[28:29]
	v_add_u32_e32 v40, s33, v40
	global_store_dword v[0:1], v2, off
	s_waitcnt vmcnt(23)
	v_mul_f32_e32 v2, 0.5, v16
	v_lshl_add_u64 v[0:1], v[40:41], 2, s[28:29]
	global_store_dword v[0:1], v2, off
	scratch_load_dwordx4 v[0:3], off, off offset:256
	v_add_u32_e32 v40, s33, v40
	v_mul_f32_e32 v24, 0.5, v17
	v_lshl_add_u64 v[16:17], v[40:41], 2, s[28:29]
	v_add_u32_e32 v40, s33, v40
	global_store_dword v[16:17], v24, off
	v_mul_f32_e32 v18, 0.5, v18
	v_lshl_add_u64 v[16:17], v[40:41], 2, s[28:29]
	v_add_u32_e32 v40, s33, v40
	global_store_dword v[16:17], v18, off
	;; [unrolled: 4-line block ×3, first 2 shown]
	s_waitcnt vmcnt(23)
	v_mul_f32_e32 v18, 0.5, v20
	v_lshl_add_u64 v[16:17], v[40:41], 2, s[28:29]
	v_add_u32_e32 v40, s33, v40
	global_store_dword v[16:17], v18, off
	v_mul_f32_e32 v24, 0.5, v21
	scratch_load_dwordx4 v[16:19], off, off offset:272
	v_lshl_add_u64 v[20:21], v[40:41], 2, s[28:29]
	v_add_u32_e32 v40, s33, v40
	global_store_dword v[20:21], v24, off
	v_mul_f32_e32 v22, 0.5, v22
	v_lshl_add_u64 v[20:21], v[40:41], 2, s[28:29]
	v_add_u32_e32 v40, s33, v40
	global_store_dword v[20:21], v22, off
	v_mul_f32_e32 v22, 0.5, v23
	v_lshl_add_u64 v[20:21], v[40:41], 2, s[28:29]
	v_add_u32_e32 v40, s33, v40
	global_store_dword v[20:21], v22, off
	s_waitcnt vmcnt(23)
	v_mul_f32_e32 v12, 0.5, v12
	v_lshl_add_u64 v[20:21], v[40:41], 2, s[28:29]
	v_add_u32_e32 v40, s33, v40
	global_store_dword v[20:21], v12, off
	v_mul_f32_e32 v24, 0.5, v13
	scratch_load_dwordx4 v[20:23], off, off offset:288
	v_lshl_add_u64 v[12:13], v[40:41], 2, s[28:29]
	v_add_u32_e32 v40, s33, v40
	global_store_dword v[12:13], v24, off
	v_mul_f32_e32 v14, 0.5, v14
	v_lshl_add_u64 v[12:13], v[40:41], 2, s[28:29]
	v_add_u32_e32 v40, s33, v40
	global_store_dword v[12:13], v14, off
	v_mul_f32_e32 v14, 0.5, v15
	v_lshl_add_u64 v[12:13], v[40:41], 2, s[28:29]
	v_add_u32_e32 v40, s33, v40
	global_store_dword v[12:13], v14, off
	s_waitcnt vmcnt(23)
	v_mul_f32_e32 v8, 0.5, v8
	v_lshl_add_u64 v[12:13], v[40:41], 2, s[28:29]
	global_store_dword v[12:13], v8, off
	scratch_load_dwordx4 v[12:15], off, off offset:304
	v_add_u32_e32 v40, s33, v40
	v_mul_f32_e32 v24, 0.5, v9
	v_lshl_add_u64 v[8:9], v[40:41], 2, s[28:29]
	v_add_u32_e32 v40, s33, v40
	global_store_dword v[8:9], v24, off
	v_mul_f32_e32 v10, 0.5, v10
	v_lshl_add_u64 v[8:9], v[40:41], 2, s[28:29]
	v_add_u32_e32 v40, s33, v40
	global_store_dword v[8:9], v10, off
	;; [unrolled: 4-line block ×3, first 2 shown]
	s_waitcnt vmcnt(23)
	v_mul_f32_e32 v4, 0.5, v4
	v_lshl_add_u64 v[8:9], v[40:41], 2, s[28:29]
	v_add_u32_e32 v40, s33, v40
	global_store_dword v[8:9], v4, off
	v_mul_f32_e32 v24, 0.5, v5
	scratch_load_dwordx4 v[8:11], off, off offset:320
	v_lshl_add_u64 v[4:5], v[40:41], 2, s[28:29]
	v_add_u32_e32 v40, s33, v40
	global_store_dword v[4:5], v24, off
	v_mul_f32_e32 v6, 0.5, v6
	v_lshl_add_u64 v[4:5], v[40:41], 2, s[28:29]
	v_add_u32_e32 v40, s33, v40
	global_store_dword v[4:5], v6, off
	v_mul_f32_e32 v6, 0.5, v7
	v_lshl_add_u64 v[4:5], v[40:41], 2, s[28:29]
	v_add_u32_e32 v40, s33, v40
	global_store_dword v[4:5], v6, off
	s_waitcnt vmcnt(23)
	v_mul_f32_e32 v0, 0.5, v0
	v_lshl_add_u64 v[4:5], v[40:41], 2, s[28:29]
	global_store_dword v[4:5], v0, off
	scratch_load_dwordx4 v[4:7], off, off offset:336
	v_add_u32_e32 v40, s33, v40
	v_mul_f32_e32 v24, 0.5, v1
	v_lshl_add_u64 v[0:1], v[40:41], 2, s[28:29]
	v_add_u32_e32 v40, s33, v40
	global_store_dword v[0:1], v24, off
	v_mul_f32_e32 v2, 0.5, v2
	v_lshl_add_u64 v[0:1], v[40:41], 2, s[28:29]
	v_add_u32_e32 v40, s33, v40
	global_store_dword v[0:1], v2, off
	;; [unrolled: 4-line block ×3, first 2 shown]
	s_waitcnt vmcnt(23)
	v_mul_f32_e32 v2, 0.5, v16
	v_lshl_add_u64 v[0:1], v[40:41], 2, s[28:29]
	v_add_u32_e32 v40, s33, v40
	global_store_dword v[0:1], v2, off
	v_mul_f32_e32 v24, 0.5, v17
	scratch_load_dwordx4 v[0:3], off, off offset:352
	v_lshl_add_u64 v[16:17], v[40:41], 2, s[28:29]
	v_add_u32_e32 v40, s33, v40
	global_store_dword v[16:17], v24, off
	v_mul_f32_e32 v18, 0.5, v18
	v_lshl_add_u64 v[16:17], v[40:41], 2, s[28:29]
	v_add_u32_e32 v40, s33, v40
	global_store_dword v[16:17], v18, off
	v_mul_f32_e32 v18, 0.5, v19
	v_lshl_add_u64 v[16:17], v[40:41], 2, s[28:29]
	v_add_u32_e32 v40, s33, v40
	global_store_dword v[16:17], v18, off
	s_waitcnt vmcnt(23)
	v_mul_f32_e32 v18, 0.5, v20
	v_lshl_add_u64 v[16:17], v[40:41], 2, s[28:29]
	v_add_u32_e32 v40, s33, v40
	global_store_dword v[16:17], v18, off
	v_mul_f32_e32 v24, 0.5, v21
	scratch_load_dwordx4 v[16:19], off, off offset:368
	v_lshl_add_u64 v[20:21], v[40:41], 2, s[28:29]
	v_add_u32_e32 v40, s33, v40
	global_store_dword v[20:21], v24, off
	v_mul_f32_e32 v22, 0.5, v22
	v_lshl_add_u64 v[20:21], v[40:41], 2, s[28:29]
	v_add_u32_e32 v40, s33, v40
	global_store_dword v[20:21], v22, off
	v_mul_f32_e32 v22, 0.5, v23
	v_lshl_add_u64 v[20:21], v[40:41], 2, s[28:29]
	v_add_u32_e32 v40, s33, v40
	global_store_dword v[20:21], v22, off
	s_waitcnt vmcnt(23)
	v_mul_f32_e32 v12, 0.5, v12
	v_lshl_add_u64 v[20:21], v[40:41], 2, s[28:29]
	global_store_dword v[20:21], v12, off
	scratch_load_dwordx4 v[20:23], off, off offset:384
	v_add_u32_e32 v40, s33, v40
	v_mul_f32_e32 v24, 0.5, v13
	v_lshl_add_u64 v[12:13], v[40:41], 2, s[28:29]
	v_add_u32_e32 v40, s33, v40
	global_store_dword v[12:13], v24, off
	v_mul_f32_e32 v14, 0.5, v14
	v_lshl_add_u64 v[12:13], v[40:41], 2, s[28:29]
	v_add_u32_e32 v40, s33, v40
	global_store_dword v[12:13], v14, off
	;; [unrolled: 4-line block ×3, first 2 shown]
	s_waitcnt vmcnt(23)
	v_mul_f32_e32 v8, 0.5, v8
	v_lshl_add_u64 v[12:13], v[40:41], 2, s[28:29]
	v_add_u32_e32 v40, s33, v40
	global_store_dword v[12:13], v8, off
	v_mul_f32_e32 v24, 0.5, v9
	scratch_load_dwordx4 v[12:15], off, off offset:400
	v_lshl_add_u64 v[8:9], v[40:41], 2, s[28:29]
	v_add_u32_e32 v40, s33, v40
	global_store_dword v[8:9], v24, off
	v_mul_f32_e32 v10, 0.5, v10
	v_lshl_add_u64 v[8:9], v[40:41], 2, s[28:29]
	v_add_u32_e32 v40, s33, v40
	global_store_dword v[8:9], v10, off
	v_mul_f32_e32 v10, 0.5, v11
	v_lshl_add_u64 v[8:9], v[40:41], 2, s[28:29]
	v_add_u32_e32 v40, s33, v40
	global_store_dword v[8:9], v10, off
	s_waitcnt vmcnt(23)
	v_mul_f32_e32 v4, 0.5, v4
	v_lshl_add_u64 v[8:9], v[40:41], 2, s[28:29]
	global_store_dword v[8:9], v4, off
	scratch_load_dwordx4 v[8:11], off, off offset:416
	v_add_u32_e32 v40, s33, v40
	v_mul_f32_e32 v24, 0.5, v5
	v_lshl_add_u64 v[4:5], v[40:41], 2, s[28:29]
	v_add_u32_e32 v40, s33, v40
	global_store_dword v[4:5], v24, off
	v_mul_f32_e32 v6, 0.5, v6
	v_lshl_add_u64 v[4:5], v[40:41], 2, s[28:29]
	v_add_u32_e32 v40, s33, v40
	global_store_dword v[4:5], v6, off
	;; [unrolled: 4-line block ×3, first 2 shown]
	s_waitcnt vmcnt(23)
	v_mul_f32_e32 v0, 0.5, v0
	v_lshl_add_u64 v[4:5], v[40:41], 2, s[28:29]
	v_add_u32_e32 v40, s33, v40
	global_store_dword v[4:5], v0, off
	v_mul_f32_e32 v24, 0.5, v1
	scratch_load_dwordx4 v[4:7], off, off offset:432
	v_lshl_add_u64 v[0:1], v[40:41], 2, s[28:29]
	v_add_u32_e32 v40, s33, v40
	global_store_dword v[0:1], v24, off
	v_mul_f32_e32 v2, 0.5, v2
	v_lshl_add_u64 v[0:1], v[40:41], 2, s[28:29]
	v_add_u32_e32 v40, s33, v40
	global_store_dword v[0:1], v2, off
	v_mul_f32_e32 v2, 0.5, v3
	v_lshl_add_u64 v[0:1], v[40:41], 2, s[28:29]
	v_add_u32_e32 v40, s33, v40
	global_store_dword v[0:1], v2, off
	s_waitcnt vmcnt(23)
	v_mul_f32_e32 v2, 0.5, v16
	v_lshl_add_u64 v[0:1], v[40:41], 2, s[28:29]
	v_add_u32_e32 v40, s33, v40
	global_store_dword v[0:1], v2, off
	v_mul_f32_e32 v24, 0.5, v17
	scratch_load_dwordx4 v[0:3], off, off offset:448
	v_lshl_add_u64 v[16:17], v[40:41], 2, s[28:29]
	v_add_u32_e32 v40, s33, v40
	global_store_dword v[16:17], v24, off
	v_mul_f32_e32 v18, 0.5, v18
	v_lshl_add_u64 v[16:17], v[40:41], 2, s[28:29]
	v_add_u32_e32 v40, s33, v40
	global_store_dword v[16:17], v18, off
	v_mul_f32_e32 v18, 0.5, v19
	v_lshl_add_u64 v[16:17], v[40:41], 2, s[28:29]
	v_add_u32_e32 v40, s33, v40
	global_store_dword v[16:17], v18, off
	s_waitcnt vmcnt(23)
	v_mul_f32_e32 v18, 0.5, v20
	v_lshl_add_u64 v[16:17], v[40:41], 2, s[28:29]
	global_store_dword v[16:17], v18, off
	scratch_load_dwordx4 v[16:19], off, off offset:464
	v_add_u32_e32 v40, s33, v40
	v_mul_f32_e32 v24, 0.5, v21
	v_lshl_add_u64 v[20:21], v[40:41], 2, s[28:29]
	v_add_u32_e32 v40, s33, v40
	global_store_dword v[20:21], v24, off
	v_mul_f32_e32 v22, 0.5, v22
	v_lshl_add_u64 v[20:21], v[40:41], 2, s[28:29]
	v_add_u32_e32 v40, s33, v40
	global_store_dword v[20:21], v22, off
	;; [unrolled: 4-line block ×3, first 2 shown]
	s_waitcnt vmcnt(23)
	v_mul_f32_e32 v12, 0.5, v12
	v_lshl_add_u64 v[24:25], v[40:41], 2, s[28:29]
	scratch_load_dwordx4 v[20:23], off, off offset:480
	v_add_u32_e32 v40, s33, v40
	global_store_dword v[24:25], v12, off
	v_mul_f32_e32 v24, 0.5, v13
	v_lshl_add_u64 v[12:13], v[40:41], 2, s[28:29]
	v_add_u32_e32 v40, s33, v40
	global_store_dword v[12:13], v24, off
	v_mul_f32_e32 v14, 0.5, v14
	v_lshl_add_u64 v[12:13], v[40:41], 2, s[28:29]
	;; [unrolled: 4-line block ×3, first 2 shown]
	v_add_u32_e32 v40, s33, v40
	global_store_dword v[12:13], v14, off
	s_waitcnt vmcnt(23)
	v_mul_f32_e32 v8, 0.5, v8
	scratch_load_dwordx4 v[12:15], off, off offset:496
	v_lshl_add_u64 v[24:25], v[40:41], 2, s[28:29]
	v_add_u32_e32 v40, s33, v40
	global_store_dword v[24:25], v8, off
	v_mul_f32_e32 v24, 0.5, v9
	v_lshl_add_u64 v[8:9], v[40:41], 2, s[28:29]
	v_add_u32_e32 v40, s33, v40
	global_store_dword v[8:9], v24, off
	v_mul_f32_e32 v10, 0.5, v10
	;; [unrolled: 4-line block ×3, first 2 shown]
	v_lshl_add_u64 v[8:9], v[40:41], 2, s[28:29]
	global_store_dword v[8:9], v10, off
	scratch_load_dwordx4 v[8:11], off, off offset:512
	v_add_u32_e32 v40, s33, v40
	s_waitcnt vmcnt(24)
	v_mul_f32_e32 v4, 0.5, v4
	v_lshl_add_u64 v[24:25], v[40:41], 2, s[28:29]
	v_add_u32_e32 v40, s33, v40
	global_store_dword v[24:25], v4, off
	v_mul_f32_e32 v24, 0.5, v5
	v_lshl_add_u64 v[4:5], v[40:41], 2, s[28:29]
	v_add_u32_e32 v40, s33, v40
	global_store_dword v[4:5], v24, off
	v_mul_f32_e32 v6, 0.5, v6
	v_lshl_add_u64 v[4:5], v[40:41], 2, s[28:29]
	v_add_u32_e32 v40, s33, v40
	global_store_dword v[4:5], v6, off
	v_mul_f32_e32 v6, 0.5, v7
	v_lshl_add_u64 v[4:5], v[40:41], 2, s[28:29]
	v_add_u32_e32 v40, s33, v40
	global_store_dword v[4:5], v6, off
	s_waitcnt vmcnt(23)
	v_mul_f32_e32 v0, 0.5, v0
	v_lshl_add_u64 v[4:5], v[40:41], 2, s[28:29]
	v_add_u32_e32 v40, s33, v40
	global_store_dword v[4:5], v0, off
	v_mul_f32_e32 v4, 0.5, v1
	v_lshl_add_u64 v[0:1], v[40:41], 2, s[28:29]
	v_add_u32_e32 v40, s33, v40
	global_store_dword v[0:1], v4, off
	v_mul_f32_e32 v2, 0.5, v2
	v_lshl_add_u64 v[0:1], v[40:41], 2, s[28:29]
	v_add_u32_e32 v40, s33, v40
	global_store_dword v[0:1], v2, off
	v_mul_f32_e32 v2, 0.5, v3
	v_lshl_add_u64 v[0:1], v[40:41], 2, s[28:29]
	v_add_u32_e32 v40, s33, v40
	global_store_dword v[0:1], v2, off
	;; [unrolled: 17-line block ×5, first 2 shown]
	s_waitcnt vmcnt(20)
	v_mul_f32_e32 v2, 0.5, v8
	v_lshl_add_u64 v[0:1], v[40:41], 2, s[28:29]
	v_add_u32_e32 v40, s33, v40
	global_store_dword v[0:1], v2, off
	v_mul_f32_e32 v2, 0.5, v9
	v_lshl_add_u64 v[0:1], v[40:41], 2, s[28:29]
	v_add_u32_e32 v40, s33, v40
	global_store_dword v[0:1], v2, off
	;; [unrolled: 4-line block ×3, first 2 shown]
	v_mul_f32_e32 v2, 0.5, v11
	v_lshl_add_u64 v[0:1], v[40:41], 2, s[28:29]
	global_store_dword v[0:1], v2, off
.LBB7_36:
	s_endpgm
	.section	.rodata,"a",@progbits
	.p2align	6, 0x0
	.amdhsa_kernel _ZL11fasten_mainILm128EEviiPK4AtomS2_PKfS4_S4_S4_S4_S4_PfPK8FFParamsi
		.amdhsa_group_segment_fixed_size 0
		.amdhsa_private_segment_fixed_size 8208
		.amdhsa_kernarg_size 352
		.amdhsa_user_sgpr_count 2
		.amdhsa_user_sgpr_dispatch_ptr 0
		.amdhsa_user_sgpr_queue_ptr 0
		.amdhsa_user_sgpr_kernarg_segment_ptr 1
		.amdhsa_user_sgpr_dispatch_id 0
		.amdhsa_user_sgpr_kernarg_preload_length 0
		.amdhsa_user_sgpr_kernarg_preload_offset 0
		.amdhsa_user_sgpr_private_segment_size 0
		.amdhsa_uses_dynamic_stack 0
		.amdhsa_enable_private_segment 1
		.amdhsa_system_sgpr_workgroup_id_x 1
		.amdhsa_system_sgpr_workgroup_id_y 0
		.amdhsa_system_sgpr_workgroup_id_z 0
		.amdhsa_system_sgpr_workgroup_info 0
		.amdhsa_system_vgpr_workitem_id 0
		.amdhsa_next_free_vgpr 66
		.amdhsa_next_free_sgpr 52
		.amdhsa_accum_offset 68
		.amdhsa_reserve_vcc 1
		.amdhsa_float_round_mode_32 0
		.amdhsa_float_round_mode_16_64 0
		.amdhsa_float_denorm_mode_32 3
		.amdhsa_float_denorm_mode_16_64 3
		.amdhsa_dx10_clamp 1
		.amdhsa_ieee_mode 1
		.amdhsa_fp16_overflow 0
		.amdhsa_tg_split 0
		.amdhsa_exception_fp_ieee_invalid_op 0
		.amdhsa_exception_fp_denorm_src 0
		.amdhsa_exception_fp_ieee_div_zero 0
		.amdhsa_exception_fp_ieee_overflow 0
		.amdhsa_exception_fp_ieee_underflow 0
		.amdhsa_exception_fp_ieee_inexact 0
		.amdhsa_exception_int_div_zero 0
	.end_amdhsa_kernel
	.section	.text._ZL11fasten_mainILm128EEviiPK4AtomS2_PKfS4_S4_S4_S4_S4_PfPK8FFParamsi,"axG",@progbits,_ZL11fasten_mainILm128EEviiPK4AtomS2_PKfS4_S4_S4_S4_S4_PfPK8FFParamsi,comdat
.Lfunc_end7:
	.size	_ZL11fasten_mainILm128EEviiPK4AtomS2_PKfS4_S4_S4_S4_S4_PfPK8FFParamsi, .Lfunc_end7-_ZL11fasten_mainILm128EEviiPK4AtomS2_PKfS4_S4_S4_S4_S4_PfPK8FFParamsi
                                        ; -- End function
	.set _ZL11fasten_mainILm128EEviiPK4AtomS2_PKfS4_S4_S4_S4_S4_PfPK8FFParamsi.num_vgpr, 66
	.set _ZL11fasten_mainILm128EEviiPK4AtomS2_PKfS4_S4_S4_S4_S4_PfPK8FFParamsi.num_agpr, 0
	.set _ZL11fasten_mainILm128EEviiPK4AtomS2_PKfS4_S4_S4_S4_S4_PfPK8FFParamsi.numbered_sgpr, 52
	.set _ZL11fasten_mainILm128EEviiPK4AtomS2_PKfS4_S4_S4_S4_S4_PfPK8FFParamsi.num_named_barrier, 0
	.set _ZL11fasten_mainILm128EEviiPK4AtomS2_PKfS4_S4_S4_S4_S4_PfPK8FFParamsi.private_seg_size, 8208
	.set _ZL11fasten_mainILm128EEviiPK4AtomS2_PKfS4_S4_S4_S4_S4_PfPK8FFParamsi.uses_vcc, 1
	.set _ZL11fasten_mainILm128EEviiPK4AtomS2_PKfS4_S4_S4_S4_S4_PfPK8FFParamsi.uses_flat_scratch, 0
	.set _ZL11fasten_mainILm128EEviiPK4AtomS2_PKfS4_S4_S4_S4_S4_PfPK8FFParamsi.has_dyn_sized_stack, 0
	.set _ZL11fasten_mainILm128EEviiPK4AtomS2_PKfS4_S4_S4_S4_S4_PfPK8FFParamsi.has_recursion, 0
	.set _ZL11fasten_mainILm128EEviiPK4AtomS2_PKfS4_S4_S4_S4_S4_PfPK8FFParamsi.has_indirect_call, 0
	.section	.AMDGPU.csdata,"",@progbits
; Kernel info:
; codeLenInByte = 10568
; TotalNumSgprs: 58
; NumVgprs: 66
; NumAgprs: 0
; TotalNumVgprs: 66
; ScratchSize: 8208
; MemoryBound: 0
; FloatMode: 240
; IeeeMode: 1
; LDSByteSize: 0 bytes/workgroup (compile time only)
; SGPRBlocks: 7
; VGPRBlocks: 8
; NumSGPRsForWavesPerEU: 58
; NumVGPRsForWavesPerEU: 66
; AccumOffset: 68
; Occupancy: 7
; WaveLimiterHint : 1
; COMPUTE_PGM_RSRC2:SCRATCH_EN: 1
; COMPUTE_PGM_RSRC2:USER_SGPR: 2
; COMPUTE_PGM_RSRC2:TRAP_HANDLER: 0
; COMPUTE_PGM_RSRC2:TGID_X_EN: 1
; COMPUTE_PGM_RSRC2:TGID_Y_EN: 0
; COMPUTE_PGM_RSRC2:TGID_Z_EN: 0
; COMPUTE_PGM_RSRC2:TIDIG_COMP_CNT: 0
; COMPUTE_PGM_RSRC3_GFX90A:ACCUM_OFFSET: 16
; COMPUTE_PGM_RSRC3_GFX90A:TG_SPLIT: 0
	.section	.AMDGPU.gpr_maximums,"",@progbits
	.set amdgpu.max_num_vgpr, 0
	.set amdgpu.max_num_agpr, 0
	.set amdgpu.max_num_sgpr, 0
	.section	.AMDGPU.csdata,"",@progbits
	.type	__hip_cuid_45c1c42fadec877a,@object ; @__hip_cuid_45c1c42fadec877a
	.section	.bss,"aw",@nobits
	.globl	__hip_cuid_45c1c42fadec877a
__hip_cuid_45c1c42fadec877a:
	.byte	0                               ; 0x0
	.size	__hip_cuid_45c1c42fadec877a, 1

	.ident	"AMD clang version 22.0.0git (https://github.com/RadeonOpenCompute/llvm-project roc-7.2.4 26084 f58b06dce1f9c15707c5f808fd002e18c2accf7e)"
	.section	".note.GNU-stack","",@progbits
	.addrsig
	.addrsig_sym __hip_cuid_45c1c42fadec877a
	.amdgpu_metadata
---
amdhsa.kernels:
  - .agpr_count:     0
    .args:
      - .offset:         0
        .size:           4
        .value_kind:     by_value
      - .offset:         4
        .size:           4
        .value_kind:     by_value
      - .address_space:  global
        .offset:         8
        .size:           8
        .value_kind:     global_buffer
      - .address_space:  global
        .offset:         16
        .size:           8
        .value_kind:     global_buffer
      - .address_space:  global
        .offset:         24
        .size:           8
        .value_kind:     global_buffer
      - .address_space:  global
        .offset:         32
        .size:           8
        .value_kind:     global_buffer
      - .address_space:  global
        .offset:         40
        .size:           8
        .value_kind:     global_buffer
      - .address_space:  global
        .offset:         48
        .size:           8
        .value_kind:     global_buffer
      - .address_space:  global
        .offset:         56
        .size:           8
        .value_kind:     global_buffer
      - .address_space:  global
        .offset:         64
        .size:           8
        .value_kind:     global_buffer
      - .address_space:  global
        .offset:         72
        .size:           8
        .value_kind:     global_buffer
      - .address_space:  global
        .offset:         80
        .size:           8
        .value_kind:     global_buffer
      - .offset:         88
        .size:           4
        .value_kind:     by_value
      - .offset:         96
        .size:           4
        .value_kind:     hidden_block_count_x
      - .offset:         100
        .size:           4
        .value_kind:     hidden_block_count_y
      - .offset:         104
        .size:           4
        .value_kind:     hidden_block_count_z
      - .offset:         108
        .size:           2
        .value_kind:     hidden_group_size_x
      - .offset:         110
        .size:           2
        .value_kind:     hidden_group_size_y
      - .offset:         112
        .size:           2
        .value_kind:     hidden_group_size_z
      - .offset:         114
        .size:           2
        .value_kind:     hidden_remainder_x
      - .offset:         116
        .size:           2
        .value_kind:     hidden_remainder_y
      - .offset:         118
        .size:           2
        .value_kind:     hidden_remainder_z
      - .offset:         136
        .size:           8
        .value_kind:     hidden_global_offset_x
      - .offset:         144
        .size:           8
        .value_kind:     hidden_global_offset_y
      - .offset:         152
        .size:           8
        .value_kind:     hidden_global_offset_z
      - .offset:         160
        .size:           2
        .value_kind:     hidden_grid_dims
    .group_segment_fixed_size: 0
    .kernarg_segment_align: 8
    .kernarg_segment_size: 352
    .language:       OpenCL C
    .language_version:
      - 2
      - 0
    .max_flat_workgroup_size: 1024
    .name:           _ZL11fasten_mainILm1EEviiPK4AtomS2_PKfS4_S4_S4_S4_S4_PfPK8FFParamsi
    .private_segment_fixed_size: 0
    .sgpr_count:     58
    .sgpr_spill_count: 0
    .symbol:         _ZL11fasten_mainILm1EEviiPK4AtomS2_PKfS4_S4_S4_S4_S4_PfPK8FFParamsi.kd
    .uniform_work_group_size: 1
    .uses_dynamic_stack: false
    .vgpr_count:     45
    .vgpr_spill_count: 0
    .wavefront_size: 64
  - .agpr_count:     0
    .args:
      - .offset:         0
        .size:           4
        .value_kind:     by_value
      - .offset:         4
        .size:           4
        .value_kind:     by_value
      - .address_space:  global
        .offset:         8
        .size:           8
        .value_kind:     global_buffer
      - .address_space:  global
        .offset:         16
        .size:           8
        .value_kind:     global_buffer
      - .address_space:  global
        .offset:         24
        .size:           8
        .value_kind:     global_buffer
      - .address_space:  global
        .offset:         32
        .size:           8
        .value_kind:     global_buffer
      - .address_space:  global
        .offset:         40
        .size:           8
        .value_kind:     global_buffer
      - .address_space:  global
        .offset:         48
        .size:           8
        .value_kind:     global_buffer
      - .address_space:  global
        .offset:         56
        .size:           8
        .value_kind:     global_buffer
      - .address_space:  global
        .offset:         64
        .size:           8
        .value_kind:     global_buffer
      - .address_space:  global
        .offset:         72
        .size:           8
        .value_kind:     global_buffer
      - .address_space:  global
        .offset:         80
        .size:           8
        .value_kind:     global_buffer
      - .offset:         88
        .size:           4
        .value_kind:     by_value
      - .offset:         96
        .size:           4
        .value_kind:     hidden_block_count_x
      - .offset:         100
        .size:           4
        .value_kind:     hidden_block_count_y
      - .offset:         104
        .size:           4
        .value_kind:     hidden_block_count_z
      - .offset:         108
        .size:           2
        .value_kind:     hidden_group_size_x
      - .offset:         110
        .size:           2
        .value_kind:     hidden_group_size_y
      - .offset:         112
        .size:           2
        .value_kind:     hidden_group_size_z
      - .offset:         114
        .size:           2
        .value_kind:     hidden_remainder_x
      - .offset:         116
        .size:           2
        .value_kind:     hidden_remainder_y
      - .offset:         118
        .size:           2
        .value_kind:     hidden_remainder_z
      - .offset:         136
        .size:           8
        .value_kind:     hidden_global_offset_x
      - .offset:         144
        .size:           8
        .value_kind:     hidden_global_offset_y
      - .offset:         152
        .size:           8
        .value_kind:     hidden_global_offset_z
      - .offset:         160
        .size:           2
        .value_kind:     hidden_grid_dims
    .group_segment_fixed_size: 0
    .kernarg_segment_align: 8
    .kernarg_segment_size: 352
    .language:       OpenCL C
    .language_version:
      - 2
      - 0
    .max_flat_workgroup_size: 1024
    .name:           _ZL11fasten_mainILm2EEviiPK4AtomS2_PKfS4_S4_S4_S4_S4_PfPK8FFParamsi
    .private_segment_fixed_size: 112
    .sgpr_count:     58
    .sgpr_spill_count: 0
    .symbol:         _ZL11fasten_mainILm2EEviiPK4AtomS2_PKfS4_S4_S4_S4_S4_PfPK8FFParamsi.kd
    .uniform_work_group_size: 1
    .uses_dynamic_stack: false
    .vgpr_count:     67
    .vgpr_spill_count: 0
    .wavefront_size: 64
  - .agpr_count:     0
    .args:
      - .offset:         0
        .size:           4
        .value_kind:     by_value
      - .offset:         4
        .size:           4
        .value_kind:     by_value
      - .address_space:  global
        .offset:         8
        .size:           8
        .value_kind:     global_buffer
      - .address_space:  global
        .offset:         16
        .size:           8
        .value_kind:     global_buffer
      - .address_space:  global
        .offset:         24
        .size:           8
        .value_kind:     global_buffer
      - .address_space:  global
        .offset:         32
        .size:           8
        .value_kind:     global_buffer
      - .address_space:  global
        .offset:         40
        .size:           8
        .value_kind:     global_buffer
      - .address_space:  global
        .offset:         48
        .size:           8
        .value_kind:     global_buffer
      - .address_space:  global
        .offset:         56
        .size:           8
        .value_kind:     global_buffer
      - .address_space:  global
        .offset:         64
        .size:           8
        .value_kind:     global_buffer
      - .address_space:  global
        .offset:         72
        .size:           8
        .value_kind:     global_buffer
      - .address_space:  global
        .offset:         80
        .size:           8
        .value_kind:     global_buffer
      - .offset:         88
        .size:           4
        .value_kind:     by_value
      - .offset:         96
        .size:           4
        .value_kind:     hidden_block_count_x
      - .offset:         100
        .size:           4
        .value_kind:     hidden_block_count_y
      - .offset:         104
        .size:           4
        .value_kind:     hidden_block_count_z
      - .offset:         108
        .size:           2
        .value_kind:     hidden_group_size_x
      - .offset:         110
        .size:           2
        .value_kind:     hidden_group_size_y
      - .offset:         112
        .size:           2
        .value_kind:     hidden_group_size_z
      - .offset:         114
        .size:           2
        .value_kind:     hidden_remainder_x
      - .offset:         116
        .size:           2
        .value_kind:     hidden_remainder_y
      - .offset:         118
        .size:           2
        .value_kind:     hidden_remainder_z
      - .offset:         136
        .size:           8
        .value_kind:     hidden_global_offset_x
      - .offset:         144
        .size:           8
        .value_kind:     hidden_global_offset_y
      - .offset:         152
        .size:           8
        .value_kind:     hidden_global_offset_z
      - .offset:         160
        .size:           2
        .value_kind:     hidden_grid_dims
    .group_segment_fixed_size: 0
    .kernarg_segment_align: 8
    .kernarg_segment_size: 352
    .language:       OpenCL C
    .language_version:
      - 2
      - 0
    .max_flat_workgroup_size: 1024
    .name:           _ZL11fasten_mainILm4EEviiPK4AtomS2_PKfS4_S4_S4_S4_S4_PfPK8FFParamsi
    .private_segment_fixed_size: 224
    .sgpr_count:     67
    .sgpr_spill_count: 0
    .symbol:         _ZL11fasten_mainILm4EEviiPK4AtomS2_PKfS4_S4_S4_S4_S4_PfPK8FFParamsi.kd
    .uniform_work_group_size: 1
    .uses_dynamic_stack: false
    .vgpr_count:     111
    .vgpr_spill_count: 0
    .wavefront_size: 64
  - .agpr_count:     0
    .args:
      - .offset:         0
        .size:           4
        .value_kind:     by_value
      - .offset:         4
        .size:           4
        .value_kind:     by_value
      - .address_space:  global
        .offset:         8
        .size:           8
        .value_kind:     global_buffer
      - .address_space:  global
        .offset:         16
        .size:           8
        .value_kind:     global_buffer
      - .address_space:  global
        .offset:         24
        .size:           8
        .value_kind:     global_buffer
      - .address_space:  global
        .offset:         32
        .size:           8
        .value_kind:     global_buffer
      - .address_space:  global
        .offset:         40
        .size:           8
        .value_kind:     global_buffer
      - .address_space:  global
        .offset:         48
        .size:           8
        .value_kind:     global_buffer
      - .address_space:  global
        .offset:         56
        .size:           8
        .value_kind:     global_buffer
      - .address_space:  global
        .offset:         64
        .size:           8
        .value_kind:     global_buffer
      - .address_space:  global
        .offset:         72
        .size:           8
        .value_kind:     global_buffer
      - .address_space:  global
        .offset:         80
        .size:           8
        .value_kind:     global_buffer
      - .offset:         88
        .size:           4
        .value_kind:     by_value
      - .offset:         96
        .size:           4
        .value_kind:     hidden_block_count_x
      - .offset:         100
        .size:           4
        .value_kind:     hidden_block_count_y
      - .offset:         104
        .size:           4
        .value_kind:     hidden_block_count_z
      - .offset:         108
        .size:           2
        .value_kind:     hidden_group_size_x
      - .offset:         110
        .size:           2
        .value_kind:     hidden_group_size_y
      - .offset:         112
        .size:           2
        .value_kind:     hidden_group_size_z
      - .offset:         114
        .size:           2
        .value_kind:     hidden_remainder_x
      - .offset:         116
        .size:           2
        .value_kind:     hidden_remainder_y
      - .offset:         118
        .size:           2
        .value_kind:     hidden_remainder_z
      - .offset:         136
        .size:           8
        .value_kind:     hidden_global_offset_x
      - .offset:         144
        .size:           8
        .value_kind:     hidden_global_offset_y
      - .offset:         152
        .size:           8
        .value_kind:     hidden_global_offset_z
      - .offset:         160
        .size:           2
        .value_kind:     hidden_grid_dims
    .group_segment_fixed_size: 0
    .kernarg_segment_align: 8
    .kernarg_segment_size: 352
    .language:       OpenCL C
    .language_version:
      - 2
      - 0
    .max_flat_workgroup_size: 1024
    .name:           _ZL11fasten_mainILm8EEviiPK4AtomS2_PKfS4_S4_S4_S4_S4_PfPK8FFParamsi
    .private_segment_fixed_size: 576
    .sgpr_count:     55
    .sgpr_spill_count: 0
    .symbol:         _ZL11fasten_mainILm8EEviiPK4AtomS2_PKfS4_S4_S4_S4_S4_PfPK8FFParamsi.kd
    .uniform_work_group_size: 1
    .uses_dynamic_stack: false
    .vgpr_count:     128
    .vgpr_spill_count: 36
    .wavefront_size: 64
  - .agpr_count:     0
    .args:
      - .offset:         0
        .size:           4
        .value_kind:     by_value
      - .offset:         4
        .size:           4
        .value_kind:     by_value
      - .address_space:  global
        .offset:         8
        .size:           8
        .value_kind:     global_buffer
      - .address_space:  global
        .offset:         16
        .size:           8
        .value_kind:     global_buffer
      - .address_space:  global
        .offset:         24
        .size:           8
        .value_kind:     global_buffer
      - .address_space:  global
        .offset:         32
        .size:           8
        .value_kind:     global_buffer
      - .address_space:  global
        .offset:         40
        .size:           8
        .value_kind:     global_buffer
      - .address_space:  global
        .offset:         48
        .size:           8
        .value_kind:     global_buffer
      - .address_space:  global
        .offset:         56
        .size:           8
        .value_kind:     global_buffer
      - .address_space:  global
        .offset:         64
        .size:           8
        .value_kind:     global_buffer
      - .address_space:  global
        .offset:         72
        .size:           8
        .value_kind:     global_buffer
      - .address_space:  global
        .offset:         80
        .size:           8
        .value_kind:     global_buffer
      - .offset:         88
        .size:           4
        .value_kind:     by_value
      - .offset:         96
        .size:           4
        .value_kind:     hidden_block_count_x
      - .offset:         100
        .size:           4
        .value_kind:     hidden_block_count_y
      - .offset:         104
        .size:           4
        .value_kind:     hidden_block_count_z
      - .offset:         108
        .size:           2
        .value_kind:     hidden_group_size_x
      - .offset:         110
        .size:           2
        .value_kind:     hidden_group_size_y
      - .offset:         112
        .size:           2
        .value_kind:     hidden_group_size_z
      - .offset:         114
        .size:           2
        .value_kind:     hidden_remainder_x
      - .offset:         116
        .size:           2
        .value_kind:     hidden_remainder_y
      - .offset:         118
        .size:           2
        .value_kind:     hidden_remainder_z
      - .offset:         136
        .size:           8
        .value_kind:     hidden_global_offset_x
      - .offset:         144
        .size:           8
        .value_kind:     hidden_global_offset_y
      - .offset:         152
        .size:           8
        .value_kind:     hidden_global_offset_z
      - .offset:         160
        .size:           2
        .value_kind:     hidden_grid_dims
    .group_segment_fixed_size: 0
    .kernarg_segment_align: 8
    .kernarg_segment_size: 352
    .language:       OpenCL C
    .language_version:
      - 2
      - 0
    .max_flat_workgroup_size: 1024
    .name:           _ZL11fasten_mainILm16EEviiPK4AtomS2_PKfS4_S4_S4_S4_S4_PfPK8FFParamsi
    .private_segment_fixed_size: 1856
    .sgpr_count:     55
    .sgpr_spill_count: 0
    .symbol:         _ZL11fasten_mainILm16EEviiPK4AtomS2_PKfS4_S4_S4_S4_S4_PfPK8FFParamsi.kd
    .uniform_work_group_size: 1
    .uses_dynamic_stack: false
    .vgpr_count:     128
    .vgpr_spill_count: 254
    .wavefront_size: 64
  - .agpr_count:     0
    .args:
      - .offset:         0
        .size:           4
        .value_kind:     by_value
      - .offset:         4
        .size:           4
        .value_kind:     by_value
      - .address_space:  global
        .offset:         8
        .size:           8
        .value_kind:     global_buffer
      - .address_space:  global
        .offset:         16
        .size:           8
        .value_kind:     global_buffer
      - .address_space:  global
        .offset:         24
        .size:           8
        .value_kind:     global_buffer
      - .address_space:  global
        .offset:         32
        .size:           8
        .value_kind:     global_buffer
      - .address_space:  global
        .offset:         40
        .size:           8
        .value_kind:     global_buffer
      - .address_space:  global
        .offset:         48
        .size:           8
        .value_kind:     global_buffer
      - .address_space:  global
        .offset:         56
        .size:           8
        .value_kind:     global_buffer
      - .address_space:  global
        .offset:         64
        .size:           8
        .value_kind:     global_buffer
      - .address_space:  global
        .offset:         72
        .size:           8
        .value_kind:     global_buffer
      - .address_space:  global
        .offset:         80
        .size:           8
        .value_kind:     global_buffer
      - .offset:         88
        .size:           4
        .value_kind:     by_value
      - .offset:         96
        .size:           4
        .value_kind:     hidden_block_count_x
      - .offset:         100
        .size:           4
        .value_kind:     hidden_block_count_y
      - .offset:         104
        .size:           4
        .value_kind:     hidden_block_count_z
      - .offset:         108
        .size:           2
        .value_kind:     hidden_group_size_x
      - .offset:         110
        .size:           2
        .value_kind:     hidden_group_size_y
      - .offset:         112
        .size:           2
        .value_kind:     hidden_group_size_z
      - .offset:         114
        .size:           2
        .value_kind:     hidden_remainder_x
      - .offset:         116
        .size:           2
        .value_kind:     hidden_remainder_y
      - .offset:         118
        .size:           2
        .value_kind:     hidden_remainder_z
      - .offset:         136
        .size:           8
        .value_kind:     hidden_global_offset_x
      - .offset:         144
        .size:           8
        .value_kind:     hidden_global_offset_y
      - .offset:         152
        .size:           8
        .value_kind:     hidden_global_offset_z
      - .offset:         160
        .size:           2
        .value_kind:     hidden_grid_dims
    .group_segment_fixed_size: 0
    .kernarg_segment_align: 8
    .kernarg_segment_size: 352
    .language:       OpenCL C
    .language_version:
      - 2
      - 0
    .max_flat_workgroup_size: 1024
    .name:           _ZL11fasten_mainILm32EEviiPK4AtomS2_PKfS4_S4_S4_S4_S4_PfPK8FFParamsi
    .private_segment_fixed_size: 3856
    .sgpr_count:     55
    .sgpr_spill_count: 0
    .symbol:         _ZL11fasten_mainILm32EEviiPK4AtomS2_PKfS4_S4_S4_S4_S4_PfPK8FFParamsi.kd
    .uniform_work_group_size: 1
    .uses_dynamic_stack: false
    .vgpr_count:     128
    .vgpr_spill_count: 546
    .wavefront_size: 64
  - .agpr_count:     0
    .args:
      - .offset:         0
        .size:           4
        .value_kind:     by_value
      - .offset:         4
        .size:           4
        .value_kind:     by_value
      - .address_space:  global
        .offset:         8
        .size:           8
        .value_kind:     global_buffer
      - .address_space:  global
        .offset:         16
        .size:           8
        .value_kind:     global_buffer
      - .address_space:  global
        .offset:         24
        .size:           8
        .value_kind:     global_buffer
      - .address_space:  global
        .offset:         32
        .size:           8
        .value_kind:     global_buffer
      - .address_space:  global
        .offset:         40
        .size:           8
        .value_kind:     global_buffer
      - .address_space:  global
        .offset:         48
        .size:           8
        .value_kind:     global_buffer
      - .address_space:  global
        .offset:         56
        .size:           8
        .value_kind:     global_buffer
      - .address_space:  global
        .offset:         64
        .size:           8
        .value_kind:     global_buffer
      - .address_space:  global
        .offset:         72
        .size:           8
        .value_kind:     global_buffer
      - .address_space:  global
        .offset:         80
        .size:           8
        .value_kind:     global_buffer
      - .offset:         88
        .size:           4
        .value_kind:     by_value
      - .offset:         96
        .size:           4
        .value_kind:     hidden_block_count_x
      - .offset:         100
        .size:           4
        .value_kind:     hidden_block_count_y
      - .offset:         104
        .size:           4
        .value_kind:     hidden_block_count_z
      - .offset:         108
        .size:           2
        .value_kind:     hidden_group_size_x
      - .offset:         110
        .size:           2
        .value_kind:     hidden_group_size_y
      - .offset:         112
        .size:           2
        .value_kind:     hidden_group_size_z
      - .offset:         114
        .size:           2
        .value_kind:     hidden_remainder_x
      - .offset:         116
        .size:           2
        .value_kind:     hidden_remainder_y
      - .offset:         118
        .size:           2
        .value_kind:     hidden_remainder_z
      - .offset:         136
        .size:           8
        .value_kind:     hidden_global_offset_x
      - .offset:         144
        .size:           8
        .value_kind:     hidden_global_offset_y
      - .offset:         152
        .size:           8
        .value_kind:     hidden_global_offset_z
      - .offset:         160
        .size:           2
        .value_kind:     hidden_grid_dims
    .group_segment_fixed_size: 0
    .kernarg_segment_align: 8
    .kernarg_segment_size: 352
    .language:       OpenCL C
    .language_version:
      - 2
      - 0
    .max_flat_workgroup_size: 1024
    .name:           _ZL11fasten_mainILm64EEviiPK4AtomS2_PKfS4_S4_S4_S4_S4_PfPK8FFParamsi
    .private_segment_fixed_size: 6096
    .sgpr_count:     55
    .sgpr_spill_count: 0
    .symbol:         _ZL11fasten_mainILm64EEviiPK4AtomS2_PKfS4_S4_S4_S4_S4_PfPK8FFParamsi.kd
    .uniform_work_group_size: 1
    .uses_dynamic_stack: false
    .vgpr_count:     128
    .vgpr_spill_count: 687
    .wavefront_size: 64
  - .agpr_count:     0
    .args:
      - .offset:         0
        .size:           4
        .value_kind:     by_value
      - .offset:         4
        .size:           4
        .value_kind:     by_value
      - .address_space:  global
        .offset:         8
        .size:           8
        .value_kind:     global_buffer
      - .address_space:  global
        .offset:         16
        .size:           8
        .value_kind:     global_buffer
      - .address_space:  global
        .offset:         24
        .size:           8
        .value_kind:     global_buffer
      - .address_space:  global
        .offset:         32
        .size:           8
        .value_kind:     global_buffer
      - .address_space:  global
        .offset:         40
        .size:           8
        .value_kind:     global_buffer
      - .address_space:  global
        .offset:         48
        .size:           8
        .value_kind:     global_buffer
      - .address_space:  global
        .offset:         56
        .size:           8
        .value_kind:     global_buffer
      - .address_space:  global
        .offset:         64
        .size:           8
        .value_kind:     global_buffer
      - .address_space:  global
        .offset:         72
        .size:           8
        .value_kind:     global_buffer
      - .address_space:  global
        .offset:         80
        .size:           8
        .value_kind:     global_buffer
      - .offset:         88
        .size:           4
        .value_kind:     by_value
      - .offset:         96
        .size:           4
        .value_kind:     hidden_block_count_x
      - .offset:         100
        .size:           4
        .value_kind:     hidden_block_count_y
      - .offset:         104
        .size:           4
        .value_kind:     hidden_block_count_z
      - .offset:         108
        .size:           2
        .value_kind:     hidden_group_size_x
      - .offset:         110
        .size:           2
        .value_kind:     hidden_group_size_y
      - .offset:         112
        .size:           2
        .value_kind:     hidden_group_size_z
      - .offset:         114
        .size:           2
        .value_kind:     hidden_remainder_x
      - .offset:         116
        .size:           2
        .value_kind:     hidden_remainder_y
      - .offset:         118
        .size:           2
        .value_kind:     hidden_remainder_z
      - .offset:         136
        .size:           8
        .value_kind:     hidden_global_offset_x
      - .offset:         144
        .size:           8
        .value_kind:     hidden_global_offset_y
      - .offset:         152
        .size:           8
        .value_kind:     hidden_global_offset_z
      - .offset:         160
        .size:           2
        .value_kind:     hidden_grid_dims
    .group_segment_fixed_size: 0
    .kernarg_segment_align: 8
    .kernarg_segment_size: 352
    .language:       OpenCL C
    .language_version:
      - 2
      - 0
    .max_flat_workgroup_size: 1024
    .name:           _ZL11fasten_mainILm128EEviiPK4AtomS2_PKfS4_S4_S4_S4_S4_PfPK8FFParamsi
    .private_segment_fixed_size: 8208
    .sgpr_count:     58
    .sgpr_spill_count: 0
    .symbol:         _ZL11fasten_mainILm128EEviiPK4AtomS2_PKfS4_S4_S4_S4_S4_PfPK8FFParamsi.kd
    .uniform_work_group_size: 1
    .uses_dynamic_stack: false
    .vgpr_count:     66
    .vgpr_spill_count: 0
    .wavefront_size: 64
amdhsa.target:   amdgcn-amd-amdhsa--gfx950
amdhsa.version:
  - 1
  - 2
...

	.end_amdgpu_metadata
